;; amdgpu-corpus repo=ROCm/rocFFT kind=compiled arch=gfx906 opt=O3
	.text
	.amdgcn_target "amdgcn-amd-amdhsa--gfx906"
	.amdhsa_code_object_version 6
	.protected	fft_rtc_fwd_len1782_factors_11_3_3_3_3_2_wgs_99_tpt_99_halfLds_dp_op_CI_CI_sbrr_dirReg ; -- Begin function fft_rtc_fwd_len1782_factors_11_3_3_3_3_2_wgs_99_tpt_99_halfLds_dp_op_CI_CI_sbrr_dirReg
	.globl	fft_rtc_fwd_len1782_factors_11_3_3_3_3_2_wgs_99_tpt_99_halfLds_dp_op_CI_CI_sbrr_dirReg
	.p2align	8
	.type	fft_rtc_fwd_len1782_factors_11_3_3_3_3_2_wgs_99_tpt_99_halfLds_dp_op_CI_CI_sbrr_dirReg,@function
fft_rtc_fwd_len1782_factors_11_3_3_3_3_2_wgs_99_tpt_99_halfLds_dp_op_CI_CI_sbrr_dirReg: ; @fft_rtc_fwd_len1782_factors_11_3_3_3_3_2_wgs_99_tpt_99_halfLds_dp_op_CI_CI_sbrr_dirReg
; %bb.0:
	s_load_dwordx4 s[16:19], s[4:5], 0x18
	s_load_dwordx4 s[12:15], s[4:5], 0x0
	;; [unrolled: 1-line block ×3, first 2 shown]
	v_mul_u32_u24_e32 v1, 0x296, v0
	v_add_u32_sdwa v6, s6, v1 dst_sel:DWORD dst_unused:UNUSED_PAD src0_sel:DWORD src1_sel:WORD_1
	s_waitcnt lgkmcnt(0)
	s_load_dwordx2 s[20:21], s[16:17], 0x0
	s_load_dwordx2 s[2:3], s[18:19], 0x0
	v_cmp_lt_u64_e64 s[0:1], s[14:15], 2
	v_mov_b32_e32 v1, 0
	v_mov_b32_e32 v4, 0
	;; [unrolled: 1-line block ×3, first 2 shown]
	s_and_b64 vcc, exec, s[0:1]
	v_mov_b32_e32 v5, 0
	s_cbranch_vccnz .LBB0_8
; %bb.1:
	s_load_dwordx2 s[0:1], s[4:5], 0x10
	s_add_u32 s6, s18, 8
	s_addc_u32 s7, s19, 0
	s_add_u32 s22, s16, 8
	v_mov_b32_e32 v4, 0
	s_addc_u32 s23, s17, 0
	v_mov_b32_e32 v5, 0
	s_waitcnt lgkmcnt(0)
	s_add_u32 s24, s0, 8
	v_mov_b32_e32 v91, v5
	s_addc_u32 s25, s1, 0
	s_mov_b64 s[26:27], 1
	v_mov_b32_e32 v90, v4
.LBB0_2:                                ; =>This Inner Loop Header: Depth=1
	s_load_dwordx2 s[28:29], s[24:25], 0x0
                                        ; implicit-def: $vgpr92_vgpr93
	s_waitcnt lgkmcnt(0)
	v_or_b32_e32 v2, s29, v7
	v_cmp_ne_u64_e32 vcc, 0, v[1:2]
	s_and_saveexec_b64 s[0:1], vcc
	s_xor_b64 s[30:31], exec, s[0:1]
	s_cbranch_execz .LBB0_4
; %bb.3:                                ;   in Loop: Header=BB0_2 Depth=1
	v_cvt_f32_u32_e32 v2, s28
	v_cvt_f32_u32_e32 v3, s29
	s_sub_u32 s0, 0, s28
	s_subb_u32 s1, 0, s29
	v_mac_f32_e32 v2, 0x4f800000, v3
	v_rcp_f32_e32 v2, v2
	v_mul_f32_e32 v2, 0x5f7ffffc, v2
	v_mul_f32_e32 v3, 0x2f800000, v2
	v_trunc_f32_e32 v3, v3
	v_mac_f32_e32 v2, 0xcf800000, v3
	v_cvt_u32_f32_e32 v3, v3
	v_cvt_u32_f32_e32 v2, v2
	v_mul_lo_u32 v8, s0, v3
	v_mul_hi_u32 v9, s0, v2
	v_mul_lo_u32 v11, s1, v2
	v_mul_lo_u32 v10, s0, v2
	v_add_u32_e32 v8, v9, v8
	v_add_u32_e32 v8, v8, v11
	v_mul_hi_u32 v9, v2, v10
	v_mul_lo_u32 v11, v2, v8
	v_mul_hi_u32 v13, v2, v8
	v_mul_hi_u32 v12, v3, v10
	v_mul_lo_u32 v10, v3, v10
	v_mul_hi_u32 v14, v3, v8
	v_add_co_u32_e32 v9, vcc, v9, v11
	v_addc_co_u32_e32 v11, vcc, 0, v13, vcc
	v_mul_lo_u32 v8, v3, v8
	v_add_co_u32_e32 v9, vcc, v9, v10
	v_addc_co_u32_e32 v9, vcc, v11, v12, vcc
	v_addc_co_u32_e32 v10, vcc, 0, v14, vcc
	v_add_co_u32_e32 v8, vcc, v9, v8
	v_addc_co_u32_e32 v9, vcc, 0, v10, vcc
	v_add_co_u32_e32 v2, vcc, v2, v8
	v_addc_co_u32_e32 v3, vcc, v3, v9, vcc
	v_mul_lo_u32 v8, s0, v3
	v_mul_hi_u32 v9, s0, v2
	v_mul_lo_u32 v10, s1, v2
	v_mul_lo_u32 v11, s0, v2
	v_add_u32_e32 v8, v9, v8
	v_add_u32_e32 v8, v8, v10
	v_mul_lo_u32 v12, v2, v8
	v_mul_hi_u32 v13, v2, v11
	v_mul_hi_u32 v14, v2, v8
	;; [unrolled: 1-line block ×3, first 2 shown]
	v_mul_lo_u32 v11, v3, v11
	v_mul_hi_u32 v9, v3, v8
	v_add_co_u32_e32 v12, vcc, v13, v12
	v_addc_co_u32_e32 v13, vcc, 0, v14, vcc
	v_mul_lo_u32 v8, v3, v8
	v_add_co_u32_e32 v11, vcc, v12, v11
	v_addc_co_u32_e32 v10, vcc, v13, v10, vcc
	v_addc_co_u32_e32 v9, vcc, 0, v9, vcc
	v_add_co_u32_e32 v8, vcc, v10, v8
	v_addc_co_u32_e32 v9, vcc, 0, v9, vcc
	v_add_co_u32_e32 v8, vcc, v2, v8
	v_addc_co_u32_e32 v9, vcc, v3, v9, vcc
	v_mad_u64_u32 v[2:3], s[0:1], v6, v9, 0
	v_mul_hi_u32 v10, v6, v8
	v_add_co_u32_e32 v10, vcc, v10, v2
	v_addc_co_u32_e32 v11, vcc, 0, v3, vcc
	v_mad_u64_u32 v[2:3], s[0:1], v7, v8, 0
	v_mad_u64_u32 v[8:9], s[0:1], v7, v9, 0
	v_add_co_u32_e32 v2, vcc, v10, v2
	v_addc_co_u32_e32 v2, vcc, v11, v3, vcc
	v_addc_co_u32_e32 v3, vcc, 0, v9, vcc
	v_add_co_u32_e32 v8, vcc, v2, v8
	v_addc_co_u32_e32 v9, vcc, 0, v3, vcc
	v_mul_lo_u32 v10, s29, v8
	v_mul_lo_u32 v11, s28, v9
	v_mad_u64_u32 v[2:3], s[0:1], s28, v8, 0
	v_add3_u32 v3, v3, v11, v10
	v_sub_u32_e32 v10, v7, v3
	v_mov_b32_e32 v11, s29
	v_sub_co_u32_e32 v2, vcc, v6, v2
	v_subb_co_u32_e64 v10, s[0:1], v10, v11, vcc
	v_subrev_co_u32_e64 v11, s[0:1], s28, v2
	v_subbrev_co_u32_e64 v10, s[0:1], 0, v10, s[0:1]
	v_cmp_le_u32_e64 s[0:1], s29, v10
	v_cndmask_b32_e64 v12, 0, -1, s[0:1]
	v_cmp_le_u32_e64 s[0:1], s28, v11
	v_cndmask_b32_e64 v11, 0, -1, s[0:1]
	v_cmp_eq_u32_e64 s[0:1], s29, v10
	v_cndmask_b32_e64 v10, v12, v11, s[0:1]
	v_add_co_u32_e64 v11, s[0:1], 2, v8
	v_addc_co_u32_e64 v12, s[0:1], 0, v9, s[0:1]
	v_add_co_u32_e64 v13, s[0:1], 1, v8
	v_addc_co_u32_e64 v14, s[0:1], 0, v9, s[0:1]
	v_subb_co_u32_e32 v3, vcc, v7, v3, vcc
	v_cmp_ne_u32_e64 s[0:1], 0, v10
	v_cmp_le_u32_e32 vcc, s29, v3
	v_cndmask_b32_e64 v10, v14, v12, s[0:1]
	v_cndmask_b32_e64 v12, 0, -1, vcc
	v_cmp_le_u32_e32 vcc, s28, v2
	v_cndmask_b32_e64 v2, 0, -1, vcc
	v_cmp_eq_u32_e32 vcc, s29, v3
	v_cndmask_b32_e32 v2, v12, v2, vcc
	v_cmp_ne_u32_e32 vcc, 0, v2
	v_cndmask_b32_e64 v2, v13, v11, s[0:1]
	v_cndmask_b32_e32 v93, v9, v10, vcc
	v_cndmask_b32_e32 v92, v8, v2, vcc
.LBB0_4:                                ;   in Loop: Header=BB0_2 Depth=1
	s_andn2_saveexec_b64 s[0:1], s[30:31]
	s_cbranch_execz .LBB0_6
; %bb.5:                                ;   in Loop: Header=BB0_2 Depth=1
	v_cvt_f32_u32_e32 v2, s28
	s_sub_i32 s30, 0, s28
	v_mov_b32_e32 v93, v1
	v_rcp_iflag_f32_e32 v2, v2
	v_mul_f32_e32 v2, 0x4f7ffffe, v2
	v_cvt_u32_f32_e32 v2, v2
	v_mul_lo_u32 v3, s30, v2
	v_mul_hi_u32 v3, v2, v3
	v_add_u32_e32 v2, v2, v3
	v_mul_hi_u32 v2, v6, v2
	v_mul_lo_u32 v3, v2, s28
	v_add_u32_e32 v8, 1, v2
	v_sub_u32_e32 v3, v6, v3
	v_subrev_u32_e32 v9, s28, v3
	v_cmp_le_u32_e32 vcc, s28, v3
	v_cndmask_b32_e32 v3, v3, v9, vcc
	v_cndmask_b32_e32 v2, v2, v8, vcc
	v_add_u32_e32 v8, 1, v2
	v_cmp_le_u32_e32 vcc, s28, v3
	v_cndmask_b32_e32 v92, v2, v8, vcc
.LBB0_6:                                ;   in Loop: Header=BB0_2 Depth=1
	s_or_b64 exec, exec, s[0:1]
	v_mul_lo_u32 v8, v93, s28
	v_mul_lo_u32 v9, v92, s29
	v_mad_u64_u32 v[2:3], s[0:1], v92, s28, 0
	s_load_dwordx2 s[0:1], s[22:23], 0x0
	s_load_dwordx2 s[28:29], s[6:7], 0x0
	v_add3_u32 v3, v3, v9, v8
	v_sub_co_u32_e32 v2, vcc, v6, v2
	v_subb_co_u32_e32 v3, vcc, v7, v3, vcc
	s_waitcnt lgkmcnt(0)
	v_mul_lo_u32 v6, s0, v3
	v_mul_lo_u32 v7, s1, v2
	v_mad_u64_u32 v[4:5], s[0:1], s0, v2, v[4:5]
	v_mul_lo_u32 v3, s28, v3
	v_mul_lo_u32 v8, s29, v2
	v_mad_u64_u32 v[90:91], s[0:1], s28, v2, v[90:91]
	s_add_u32 s26, s26, 1
	s_addc_u32 s27, s27, 0
	s_add_u32 s6, s6, 8
	v_add3_u32 v91, v8, v91, v3
	s_addc_u32 s7, s7, 0
	v_mov_b32_e32 v2, s14
	s_add_u32 s22, s22, 8
	v_mov_b32_e32 v3, s15
	s_addc_u32 s23, s23, 0
	v_cmp_ge_u64_e32 vcc, s[26:27], v[2:3]
	s_add_u32 s24, s24, 8
	v_add3_u32 v5, v7, v5, v6
	s_addc_u32 s25, s25, 0
	s_cbranch_vccnz .LBB0_9
; %bb.7:                                ;   in Loop: Header=BB0_2 Depth=1
	v_mov_b32_e32 v6, v92
	v_mov_b32_e32 v7, v93
	s_branch .LBB0_2
.LBB0_8:
	v_mov_b32_e32 v91, v5
	v_mov_b32_e32 v93, v7
	;; [unrolled: 1-line block ×4, first 2 shown]
.LBB0_9:
	s_load_dwordx2 s[0:1], s[4:5], 0x28
	s_lshl_b64 s[14:15], s[14:15], 3
	s_add_u32 s4, s18, s14
	s_addc_u32 s5, s19, s15
                                        ; implicit-def: $vgpr88
	s_waitcnt lgkmcnt(0)
	v_cmp_gt_u64_e32 vcc, s[0:1], v[92:93]
	v_cmp_le_u64_e64 s[0:1], s[0:1], v[92:93]
	s_and_saveexec_b64 s[6:7], s[0:1]
	s_xor_b64 s[0:1], exec, s[6:7]
; %bb.10:
	s_mov_b32 s6, 0x295fad5
	v_mul_hi_u32 v1, v0, s6
                                        ; implicit-def: $vgpr4_vgpr5
	v_mul_u32_u24_e32 v1, 0x63, v1
	v_sub_u32_e32 v88, v0, v1
                                        ; implicit-def: $vgpr0
; %bb.11:
	s_or_saveexec_b64 s[6:7], s[0:1]
	s_load_dwordx2 s[4:5], s[4:5], 0x0
                                        ; implicit-def: $vgpr62_vgpr63
                                        ; implicit-def: $vgpr58_vgpr59
                                        ; implicit-def: $vgpr50_vgpr51
                                        ; implicit-def: $vgpr22_vgpr23
                                        ; implicit-def: $vgpr18_vgpr19
                                        ; implicit-def: $vgpr2_vgpr3
                                        ; implicit-def: $vgpr14_vgpr15
                                        ; implicit-def: $vgpr10_vgpr11
                                        ; implicit-def: $vgpr26_vgpr27
                                        ; implicit-def: $vgpr38_vgpr39
                                        ; implicit-def: $vgpr6_vgpr7
                                        ; implicit-def: $vgpr82_vgpr83
                                        ; implicit-def: $vgpr78_vgpr79
                                        ; implicit-def: $vgpr86_vgpr87
                                        ; implicit-def: $vgpr54_vgpr55
                                        ; implicit-def: $vgpr42_vgpr43
                                        ; implicit-def: $vgpr30_vgpr31
                                        ; implicit-def: $vgpr46_vgpr47
                                        ; implicit-def: $vgpr66_vgpr67
                                        ; implicit-def: $vgpr70_vgpr71
                                        ; implicit-def: $vgpr74_vgpr75
                                        ; implicit-def: $vgpr34_vgpr35
	s_xor_b64 exec, exec, s[6:7]
	s_cbranch_execz .LBB0_15
; %bb.12:
	s_add_u32 s0, s16, s14
	s_mov_b32 s14, 0x295fad5
	s_addc_u32 s1, s17, s15
	v_mul_hi_u32 v1, v0, s14
	s_load_dwordx2 s[0:1], s[0:1], 0x0
                                        ; implicit-def: $vgpr36_vgpr37
                                        ; implicit-def: $vgpr24_vgpr25
                                        ; implicit-def: $vgpr12_vgpr13
                                        ; implicit-def: $vgpr16_vgpr17
                                        ; implicit-def: $vgpr20_vgpr21
                                        ; implicit-def: $vgpr48_vgpr49
                                        ; implicit-def: $vgpr56_vgpr57
                                        ; implicit-def: $vgpr60_vgpr61
	v_mul_u32_u24_e32 v1, 0x63, v1
	v_sub_u32_e32 v88, v0, v1
	s_waitcnt lgkmcnt(0)
	v_mul_lo_u32 v8, s1, v92
	v_mad_u64_u32 v[0:1], s[14:15], s20, v88, 0
	v_mul_lo_u32 v9, s0, v93
	v_mad_u64_u32 v[2:3], s[0:1], s0, v92, 0
	v_mad_u64_u32 v[6:7], s[0:1], s21, v88, v[1:2]
	v_add3_u32 v3, v3, v9, v8
	v_lshlrev_b64 v[2:3], 4, v[2:3]
	v_mov_b32_e32 v1, v6
	v_mov_b32_e32 v6, s9
	v_add_co_u32_e64 v7, s[0:1], s8, v2
	v_add_u32_e32 v8, 0xa2, v88
	v_addc_co_u32_e64 v6, s[0:1], v6, v3, s[0:1]
	v_lshlrev_b64 v[2:3], 4, v[4:5]
	v_mad_u64_u32 v[4:5], s[0:1], s20, v8, 0
	v_add_co_u32_e64 v62, s[0:1], v7, v2
	v_mov_b32_e32 v2, v5
	v_addc_co_u32_e64 v63, s[0:1], v6, v3, s[0:1]
	v_mad_u64_u32 v[2:3], s[0:1], s21, v8, v[2:3]
	v_lshlrev_b64 v[0:1], 4, v[0:1]
	v_add_u32_e32 v6, 0x144, v88
	v_add_co_u32_e64 v0, s[0:1], v62, v0
	v_mov_b32_e32 v5, v2
	v_addc_co_u32_e64 v1, s[0:1], v63, v1, s[0:1]
	v_lshlrev_b64 v[2:3], 4, v[4:5]
	v_mad_u64_u32 v[4:5], s[0:1], s20, v6, 0
	v_add_co_u32_e64 v2, s[0:1], v62, v2
	v_addc_co_u32_e64 v3, s[0:1], v63, v3, s[0:1]
	v_mad_u64_u32 v[5:6], s[0:1], s21, v6, v[5:6]
	v_add_u32_e32 v8, 0x1e6, v88
	v_mad_u64_u32 v[6:7], s[0:1], s20, v8, 0
	global_load_dwordx4 v[32:35], v[0:1], off
	global_load_dwordx4 v[72:75], v[2:3], off
	v_lshlrev_b64 v[0:1], 4, v[4:5]
	v_mov_b32_e32 v2, v7
	v_mad_u64_u32 v[2:3], s[0:1], s21, v8, v[2:3]
	v_add_co_u32_e64 v0, s[0:1], v62, v0
	v_mov_b32_e32 v7, v2
	v_lshlrev_b64 v[2:3], 4, v[6:7]
	v_add_u32_e32 v6, 0x288, v88
	v_addc_co_u32_e64 v1, s[0:1], v63, v1, s[0:1]
	v_mad_u64_u32 v[4:5], s[0:1], s20, v6, 0
	v_add_co_u32_e64 v2, s[0:1], v62, v2
	v_addc_co_u32_e64 v3, s[0:1], v63, v3, s[0:1]
	v_mad_u64_u32 v[5:6], s[0:1], s21, v6, v[5:6]
	v_add_u32_e32 v8, 0x32a, v88
	v_mad_u64_u32 v[6:7], s[0:1], s20, v8, 0
	global_load_dwordx4 v[68:71], v[0:1], off
	global_load_dwordx4 v[64:67], v[2:3], off
	v_lshlrev_b64 v[0:1], 4, v[4:5]
	v_mov_b32_e32 v2, v7
	v_mad_u64_u32 v[2:3], s[0:1], s21, v8, v[2:3]
	v_add_co_u32_e64 v0, s[0:1], v62, v0
	v_mov_b32_e32 v7, v2
	v_lshlrev_b64 v[2:3], 4, v[6:7]
	v_add_u32_e32 v6, 0x3cc, v88
	v_addc_co_u32_e64 v1, s[0:1], v63, v1, s[0:1]
	;; [unrolled: 16-line block ×3, first 2 shown]
	v_mad_u64_u32 v[4:5], s[0:1], s20, v6, 0
	v_add_co_u32_e64 v2, s[0:1], v62, v2
	v_addc_co_u32_e64 v3, s[0:1], v63, v3, s[0:1]
	v_mad_u64_u32 v[5:6], s[0:1], s21, v6, v[5:6]
	v_add_u32_e32 v8, 0x5b2, v88
	v_mad_u64_u32 v[6:7], s[0:1], s20, v8, 0
	global_load_dwordx4 v[40:43], v[0:1], off
	global_load_dwordx4 v[52:55], v[2:3], off
	v_lshlrev_b64 v[0:1], 4, v[4:5]
	v_mov_b32_e32 v2, v7
	v_mad_u64_u32 v[2:3], s[0:1], s21, v8, v[2:3]
	v_add_u32_e32 v8, 0x654, v88
	v_mad_u64_u32 v[3:4], s[0:1], s20, v8, 0
	v_add_co_u32_e64 v0, s[0:1], v62, v0
	v_mov_b32_e32 v7, v2
	v_mov_b32_e32 v2, v4
	v_addc_co_u32_e64 v1, s[0:1], v63, v1, s[0:1]
	v_lshlrev_b64 v[5:6], 4, v[6:7]
	v_mad_u64_u32 v[7:8], s[0:1], s21, v8, v[2:3]
	v_add_co_u32_e64 v4, s[0:1], v62, v5
	v_addc_co_u32_e64 v5, s[0:1], v63, v6, s[0:1]
	global_load_dwordx4 v[84:87], v[0:1], off
	global_load_dwordx4 v[76:79], v[4:5], off
	v_mov_b32_e32 v4, v7
	v_lshlrev_b64 v[0:1], 4, v[3:4]
                                        ; implicit-def: $vgpr4_vgpr5
                                        ; implicit-def: $vgpr8_vgpr9
	v_add_co_u32_e64 v0, s[0:1], v62, v0
	v_addc_co_u32_e64 v1, s[0:1], v63, v1, s[0:1]
	global_load_dwordx4 v[80:83], v[0:1], off
	v_cmp_gt_u32_e64 s[0:1], 63, v88
                                        ; implicit-def: $vgpr0_vgpr1
	s_and_saveexec_b64 s[8:9], s[0:1]
	s_cbranch_execz .LBB0_14
; %bb.13:
	v_add_u32_e32 v4, 0x63, v88
	v_add_u32_e32 v6, 0x105, v88
	v_mad_u64_u32 v[0:1], s[0:1], s20, v4, 0
	v_mad_u64_u32 v[2:3], s[0:1], s20, v6, 0
	v_add_u32_e32 v12, 0x249, v88
	v_add_u32_e32 v16, 0x38d, v88
	v_mad_u64_u32 v[4:5], s[0:1], s21, v4, v[1:2]
	v_add_u32_e32 v5, 0x1a7, v88
	v_add_u32_e32 v61, 0x615, v88
	v_mov_b32_e32 v1, v4
	v_lshlrev_b64 v[0:1], 4, v[0:1]
	v_mad_u64_u32 v[3:4], s[0:1], s21, v6, v[3:4]
	v_add_co_u32_e64 v0, s[0:1], v62, v0
	v_addc_co_u32_e64 v1, s[0:1], v63, v1, s[0:1]
	v_mad_u64_u32 v[8:9], s[0:1], s20, v5, 0
	v_lshlrev_b64 v[2:3], 4, v[2:3]
	v_add_co_u32_e64 v2, s[0:1], v62, v2
	v_mov_b32_e32 v4, v9
	v_addc_co_u32_e64 v3, s[0:1], v63, v3, s[0:1]
	v_mad_u64_u32 v[9:10], s[0:1], s21, v5, v[4:5]
	v_mad_u64_u32 v[10:11], s[0:1], s20, v12, 0
	global_load_dwordx4 v[4:7], v[0:1], off
	global_load_dwordx4 v[36:39], v[2:3], off
	v_lshlrev_b64 v[0:1], 4, v[8:9]
	v_mov_b32_e32 v2, v11
	v_mad_u64_u32 v[2:3], s[0:1], s21, v12, v[2:3]
	v_add_co_u32_e64 v0, s[0:1], v62, v0
	v_add_u32_e32 v9, 0x2eb, v88
	v_addc_co_u32_e64 v1, s[0:1], v63, v1, s[0:1]
	v_mad_u64_u32 v[12:13], s[0:1], s20, v9, 0
	v_mov_b32_e32 v11, v2
	v_lshlrev_b64 v[2:3], 4, v[10:11]
	v_mov_b32_e32 v8, v13
	v_add_co_u32_e64 v2, s[0:1], v62, v2
	v_addc_co_u32_e64 v3, s[0:1], v63, v3, s[0:1]
	v_mad_u64_u32 v[13:14], s[0:1], s21, v9, v[8:9]
	v_mad_u64_u32 v[14:15], s[0:1], s20, v16, 0
	global_load_dwordx4 v[24:27], v[0:1], off
	global_load_dwordx4 v[8:11], v[2:3], off
	v_lshlrev_b64 v[0:1], 4, v[12:13]
	v_mov_b32_e32 v2, v15
	v_mad_u64_u32 v[2:3], s[0:1], s21, v16, v[2:3]
	v_add_co_u32_e64 v16, s[0:1], v62, v0
	v_mov_b32_e32 v15, v2
	v_add_u32_e32 v2, 0x42f, v88
	v_addc_co_u32_e64 v17, s[0:1], v63, v1, s[0:1]
	v_mad_u64_u32 v[18:19], s[0:1], s20, v2, 0
	v_lshlrev_b64 v[0:1], 4, v[14:15]
	v_add_co_u32_e64 v20, s[0:1], v62, v0
	v_mov_b32_e32 v0, v19
	v_addc_co_u32_e64 v21, s[0:1], v63, v1, s[0:1]
	v_mad_u64_u32 v[22:23], s[0:1], s21, v2, v[0:1]
	v_add_u32_e32 v23, 0x4d1, v88
	v_mad_u64_u32 v[48:49], s[0:1], s20, v23, 0
	v_mov_b32_e32 v19, v22
	global_load_dwordx4 v[12:15], v[16:17], off
	global_load_dwordx4 v[0:3], v[20:21], off
	v_lshlrev_b64 v[16:17], 4, v[18:19]
	v_mov_b32_e32 v18, v49
	v_mad_u64_u32 v[18:19], s[0:1], s21, v23, v[18:19]
	v_add_co_u32_e64 v50, s[0:1], v62, v16
	v_mov_b32_e32 v49, v18
	v_add_u32_e32 v18, 0x573, v88
	v_addc_co_u32_e64 v51, s[0:1], v63, v17, s[0:1]
	v_lshlrev_b64 v[16:17], 4, v[48:49]
	v_mad_u64_u32 v[48:49], s[0:1], s20, v18, 0
	v_add_co_u32_e64 v56, s[0:1], v62, v16
	v_mov_b32_e32 v16, v49
	v_addc_co_u32_e64 v57, s[0:1], v63, v17, s[0:1]
	v_mad_u64_u32 v[58:59], s[0:1], s21, v18, v[16:17]
	v_mad_u64_u32 v[59:60], s[0:1], s20, v61, 0
	global_load_dwordx4 v[16:19], v[50:51], off
	global_load_dwordx4 v[20:23], v[56:57], off
	v_mov_b32_e32 v49, v58
	v_mov_b32_e32 v50, v60
	v_mad_u64_u32 v[50:51], s[0:1], s21, v61, v[50:51]
	v_add_u32_e32 v51, 0x6b7, v88
	v_mad_u64_u32 v[94:95], s[0:1], s20, v51, 0
	v_lshlrev_b64 v[48:49], 4, v[48:49]
	v_mov_b32_e32 v60, v50
	v_add_co_u32_e64 v96, s[0:1], v62, v48
	v_mov_b32_e32 v50, v95
	v_addc_co_u32_e64 v97, s[0:1], v63, v49, s[0:1]
	v_lshlrev_b64 v[48:49], 4, v[59:60]
	v_mad_u64_u32 v[60:61], s[0:1], s21, v51, v[50:51]
	v_add_co_u32_e64 v98, s[0:1], v62, v48
	v_mov_b32_e32 v95, v60
	v_lshlrev_b64 v[60:61], 4, v[94:95]
	v_addc_co_u32_e64 v99, s[0:1], v63, v49, s[0:1]
	v_add_co_u32_e64 v60, s[0:1], v62, v60
	v_addc_co_u32_e64 v61, s[0:1], v63, v61, s[0:1]
	global_load_dwordx4 v[48:51], v[96:97], off
	global_load_dwordx4 v[56:59], v[98:99], off
	s_nop 0
	global_load_dwordx4 v[60:63], v[60:61], off
.LBB0_14:
	s_or_b64 exec, exec, s[8:9]
.LBB0_15:
	s_or_b64 exec, exec, s[6:7]
	s_waitcnt vmcnt(0)
	v_add_f64 v[97:98], v[80:81], v[72:73]
	s_mov_b32 s6, 0x8764f0ba
	s_mov_b32 s8, 0xd9c712b6
	;; [unrolled: 1-line block ×10, first 2 shown]
	v_add_f64 v[99:100], v[74:75], -v[82:83]
	v_mul_f64 v[101:102], v[97:98], s[6:7]
	v_mul_f64 v[105:106], v[97:98], s[8:9]
	;; [unrolled: 1-line block ×5, first 2 shown]
	s_mov_b32 s14, 0xf8bb580b
	s_mov_b32 s18, 0x8eee2c13
	;; [unrolled: 1-line block ×20, first 2 shown]
	v_fma_f64 v[103:104], v[99:100], s[14:15], v[101:102]
	v_fma_f64 v[101:102], v[99:100], s[24:25], v[101:102]
	;; [unrolled: 1-line block ×10, first 2 shown]
	v_add_f64 v[94:95], v[72:73], v[32:33]
	v_add_f64 v[103:104], v[32:33], v[103:104]
	;; [unrolled: 1-line block ×12, first 2 shown]
	v_add_f64 v[99:100], v[70:71], -v[78:79]
	v_add_f64 v[94:95], v[68:69], v[94:95]
	v_mul_f64 v[119:120], v[97:98], s[8:9]
	v_add_f64 v[94:95], v[64:65], v[94:95]
	v_fma_f64 v[121:122], v[99:100], s[18:19], v[119:120]
	v_fma_f64 v[119:120], v[99:100], s[36:37], v[119:120]
	v_add_f64 v[94:95], v[44:45], v[94:95]
	v_add_f64 v[103:104], v[121:122], v[103:104]
	v_add_f64 v[101:102], v[119:120], v[101:102]
	v_mul_f64 v[119:120], v[97:98], s[22:23]
	v_add_f64 v[94:95], v[28:29], v[94:95]
	v_fma_f64 v[121:122], v[99:100], s[0:1], v[119:120]
	v_fma_f64 v[119:120], v[99:100], s[26:27], v[119:120]
	v_add_f64 v[94:95], v[40:41], v[94:95]
	v_add_f64 v[107:108], v[121:122], v[107:108]
	;; [unrolled: 7-line block ×3, first 2 shown]
	v_add_f64 v[109:110], v[119:120], v[109:110]
	v_mul_f64 v[119:120], v[97:98], s[16:17]
	v_mul_f64 v[97:98], v[97:98], s[6:7]
	v_add_f64 v[94:95], v[76:77], v[94:95]
	v_fma_f64 v[121:122], v[99:100], s[20:21], v[119:120]
	v_fma_f64 v[119:120], v[99:100], s[30:31], v[119:120]
	v_add_f64 v[95:96], v[80:81], v[94:95]
	v_add_f64 v[115:116], v[121:122], v[115:116]
	v_add_f64 v[113:114], v[119:120], v[113:114]
	v_fma_f64 v[119:120], v[99:100], s[24:25], v[97:98]
	v_fma_f64 v[97:98], v[99:100], s[14:15], v[97:98]
	v_add_f64 v[99:100], v[66:67], -v[86:87]
	v_add_f64 v[117:118], v[119:120], v[117:118]
	v_add_f64 v[32:33], v[97:98], v[32:33]
	;; [unrolled: 1-line block ×3, first 2 shown]
	v_mul_f64 v[119:120], v[97:98], s[16:17]
	v_fma_f64 v[121:122], v[99:100], s[30:31], v[119:120]
	v_fma_f64 v[119:120], v[99:100], s[20:21], v[119:120]
	v_add_f64 v[103:104], v[121:122], v[103:104]
	v_add_f64 v[101:102], v[119:120], v[101:102]
	v_mul_f64 v[119:120], v[97:98], s[28:29]
	v_fma_f64 v[121:122], v[99:100], s[34:35], v[119:120]
	v_fma_f64 v[119:120], v[99:100], s[38:39], v[119:120]
	v_add_f64 v[107:108], v[121:122], v[107:108]
	v_add_f64 v[105:106], v[119:120], v[105:106]
	;; [unrolled: 5-line block ×3, first 2 shown]
	v_mul_f64 v[119:120], v[97:98], s[6:7]
	v_mul_f64 v[97:98], v[97:98], s[22:23]
	v_fma_f64 v[121:122], v[99:100], s[14:15], v[119:120]
	v_fma_f64 v[119:120], v[99:100], s[24:25], v[119:120]
	v_add_f64 v[115:116], v[121:122], v[115:116]
	v_add_f64 v[113:114], v[119:120], v[113:114]
	v_fma_f64 v[119:120], v[99:100], s[0:1], v[97:98]
	v_fma_f64 v[97:98], v[99:100], s[26:27], v[97:98]
	v_add_f64 v[99:100], v[46:47], -v[54:55]
	v_add_f64 v[117:118], v[119:120], v[117:118]
	v_add_f64 v[32:33], v[97:98], v[32:33]
	;; [unrolled: 1-line block ×3, first 2 shown]
	v_mul_f64 v[119:120], v[97:98], s[22:23]
	v_fma_f64 v[121:122], v[99:100], s[0:1], v[119:120]
	v_fma_f64 v[119:120], v[99:100], s[26:27], v[119:120]
	v_add_f64 v[103:104], v[121:122], v[103:104]
	v_add_f64 v[101:102], v[119:120], v[101:102]
	v_mul_f64 v[119:120], v[97:98], s[16:17]
	v_fma_f64 v[121:122], v[99:100], s[20:21], v[119:120]
	v_fma_f64 v[119:120], v[99:100], s[30:31], v[119:120]
	v_add_f64 v[107:108], v[121:122], v[107:108]
	v_add_f64 v[105:106], v[119:120], v[105:106]
	;; [unrolled: 5-line block ×3, first 2 shown]
	v_mul_f64 v[119:120], v[97:98], s[28:29]
	v_mul_f64 v[97:98], v[97:98], s[8:9]
	v_fma_f64 v[121:122], v[99:100], s[38:39], v[119:120]
	v_fma_f64 v[119:120], v[99:100], s[34:35], v[119:120]
	v_add_f64 v[115:116], v[121:122], v[115:116]
	v_add_f64 v[113:114], v[119:120], v[113:114]
	v_fma_f64 v[119:120], v[99:100], s[36:37], v[97:98]
	v_fma_f64 v[97:98], v[99:100], s[18:19], v[97:98]
	v_add_f64 v[99:100], v[30:31], -v[42:43]
	v_add_f64 v[117:118], v[119:120], v[117:118]
	v_add_f64 v[32:33], v[97:98], v[32:33]
	;; [unrolled: 1-line block ×3, first 2 shown]
	v_mul_f64 v[119:120], v[97:98], s[28:29]
	v_fma_f64 v[121:122], v[99:100], s[38:39], v[119:120]
	v_fma_f64 v[119:120], v[99:100], s[34:35], v[119:120]
	v_add_f64 v[103:104], v[121:122], v[103:104]
	v_add_f64 v[101:102], v[119:120], v[101:102]
	v_mul_f64 v[119:120], v[97:98], s[6:7]
	v_fma_f64 v[121:122], v[99:100], s[24:25], v[119:120]
	v_fma_f64 v[119:120], v[99:100], s[14:15], v[119:120]
	v_add_f64 v[107:108], v[121:122], v[107:108]
	v_add_f64 v[105:106], v[119:120], v[105:106]
	v_mul_f64 v[119:120], v[97:98], s[22:23]
	v_fma_f64 v[121:122], v[99:100], s[0:1], v[119:120]
	v_fma_f64 v[119:120], v[99:100], s[26:27], v[119:120]
	s_movk_i32 s0, 0x58
	v_mad_u32_u24 v94, v88, s0, 0
	v_cmp_gt_u32_e64 s[0:1], 63, v88
	v_add_f64 v[111:112], v[121:122], v[111:112]
	v_add_f64 v[109:110], v[119:120], v[109:110]
	v_mul_f64 v[119:120], v[97:98], s[8:9]
	v_mul_f64 v[97:98], v[97:98], s[16:17]
	v_fma_f64 v[121:122], v[99:100], s[36:37], v[119:120]
	v_fma_f64 v[119:120], v[99:100], s[18:19], v[119:120]
	v_add_f64 v[115:116], v[121:122], v[115:116]
	v_add_f64 v[113:114], v[119:120], v[113:114]
	v_fma_f64 v[119:120], v[99:100], s[30:31], v[97:98]
	v_fma_f64 v[97:98], v[99:100], s[20:21], v[97:98]
	v_add_f64 v[117:118], v[119:120], v[117:118]
	v_add_f64 v[32:33], v[97:98], v[32:33]
	ds_write2_b64 v94, v[95:96], v[103:104] offset1:1
	ds_write2_b64 v94, v[107:108], v[111:112] offset0:2 offset1:3
	ds_write2_b64 v94, v[115:116], v[117:118] offset0:4 offset1:5
	;; [unrolled: 1-line block ×4, first 2 shown]
	ds_write_b64 v94, v[101:102] offset:80
	s_and_saveexec_b64 s[40:41], s[0:1]
	s_cbranch_execz .LBB0_17
; %bb.16:
	v_add_f64 v[32:33], v[38:39], -v[62:63]
	v_add_f64 v[99:100], v[26:27], -v[58:59]
	v_add_f64 v[103:104], v[60:61], v[36:37]
	v_add_f64 v[111:112], v[10:11], -v[50:51]
	v_add_f64 v[113:114], v[56:57], v[24:25]
	;; [unrolled: 2-line block ×3, first 2 shown]
	v_add_f64 v[97:98], v[2:3], -v[18:19]
	v_mul_f64 v[105:106], v[32:33], s[34:35]
	v_mul_f64 v[109:110], v[32:33], s[26:27]
	;; [unrolled: 1-line block ×5, first 2 shown]
	v_add_f64 v[101:102], v[20:21], v[12:13]
	v_mul_f64 v[127:128], v[111:112], s[24:25]
	v_mul_f64 v[133:134], v[107:108], s[18:19]
	v_fma_f64 v[121:122], v[103:104], s[28:29], v[105:106]
	v_fma_f64 v[105:106], v[103:104], s[28:29], -v[105:106]
	v_fma_f64 v[123:124], v[103:104], s[22:23], v[109:110]
	v_fma_f64 v[129:130], v[113:114], s[6:7], v[115:116]
	v_fma_f64 v[115:116], v[113:114], s[6:7], -v[115:116]
	v_fma_f64 v[131:132], v[113:114], s[16:17], v[119:120]
	v_fma_f64 v[137:138], v[117:118], s[22:23], v[125:126]
	v_fma_f64 v[125:126], v[117:118], s[22:23], -v[125:126]
	v_add_f64 v[121:122], v[4:5], v[121:122]
	v_add_f64 v[105:106], v[4:5], v[105:106]
	;; [unrolled: 1-line block ×4, first 2 shown]
	v_mul_f64 v[135:136], v[107:108], s[34:35]
	v_fma_f64 v[139:140], v[117:118], s[6:7], v[127:128]
	v_fma_f64 v[109:110], v[103:104], s[22:23], -v[109:110]
	v_fma_f64 v[119:120], v[113:114], s[16:17], -v[119:120]
	v_add_f64 v[121:122], v[129:130], v[121:122]
	v_add_f64 v[105:106], v[115:116], v[105:106]
	;; [unrolled: 1-line block ×3, first 2 shown]
	v_mul_f64 v[123:124], v[97:98], s[20:21]
	v_fma_f64 v[131:132], v[101:102], s[8:9], v[133:134]
	v_fma_f64 v[133:134], v[101:102], s[8:9], -v[133:134]
	v_mul_f64 v[129:130], v[97:98], s[18:19]
	v_fma_f64 v[141:142], v[101:102], s[28:29], v[135:136]
	v_add_f64 v[121:122], v[137:138], v[121:122]
	v_add_f64 v[105:106], v[125:126], v[105:106]
	v_mul_f64 v[125:126], v[32:33], s[20:21]
	v_add_f64 v[115:116], v[139:140], v[115:116]
	v_fma_f64 v[137:138], v[95:96], s[16:17], v[123:124]
	v_fma_f64 v[123:124], v[95:96], s[16:17], -v[123:124]
	v_add_f64 v[109:110], v[4:5], v[109:110]
	v_fma_f64 v[139:140], v[95:96], s[8:9], v[129:130]
	v_add_f64 v[121:122], v[131:132], v[121:122]
	v_add_f64 v[105:106], v[133:134], v[105:106]
	v_mul_f64 v[131:132], v[99:100], s[38:39]
	v_fma_f64 v[133:134], v[103:104], s[16:17], v[125:126]
	v_fma_f64 v[125:126], v[103:104], s[16:17], -v[125:126]
	v_add_f64 v[115:116], v[141:142], v[115:116]
	v_fma_f64 v[127:128], v[117:118], s[6:7], -v[127:128]
	v_add_f64 v[109:110], v[119:120], v[109:110]
	v_add_f64 v[121:122], v[137:138], v[121:122]
	;; [unrolled: 1-line block ×3, first 2 shown]
	v_mul_f64 v[123:124], v[111:112], s[18:19]
	v_fma_f64 v[137:138], v[113:114], s[28:29], v[131:132]
	v_add_f64 v[133:134], v[4:5], v[133:134]
	v_fma_f64 v[131:132], v[113:114], s[28:29], -v[131:132]
	v_add_f64 v[125:126], v[4:5], v[125:126]
	v_add_f64 v[141:142], v[36:37], v[4:5]
	;; [unrolled: 1-line block ×3, first 2 shown]
	v_mul_f64 v[119:120], v[107:108], s[24:25]
	v_fma_f64 v[139:140], v[117:118], s[8:9], v[123:124]
	v_fma_f64 v[135:136], v[101:102], s[28:29], -v[135:136]
	v_add_f64 v[133:134], v[137:138], v[133:134]
	v_add_f64 v[109:110], v[127:128], v[109:110]
	v_fma_f64 v[123:124], v[117:118], s[8:9], -v[123:124]
	v_add_f64 v[125:126], v[131:132], v[125:126]
	v_add_f64 v[137:138], v[24:25], v[141:142]
	v_fma_f64 v[131:132], v[101:102], s[6:7], v[119:120]
	v_fma_f64 v[119:120], v[101:102], s[6:7], -v[119:120]
	v_mul_f64 v[141:142], v[107:108], s[30:31]
	v_add_f64 v[133:134], v[139:140], v[133:134]
	v_mul_f64 v[139:140], v[32:33], s[36:37]
	v_add_f64 v[109:110], v[135:136], v[109:110]
	v_add_f64 v[123:124], v[123:124], v[125:126]
	;; [unrolled: 1-line block ×3, first 2 shown]
	v_mul_f64 v[32:33], v[32:33], s[24:25]
	v_mul_f64 v[107:108], v[107:108], s[26:27]
	;; [unrolled: 1-line block ×3, first 2 shown]
	v_add_f64 v[131:132], v[131:132], v[133:134]
	v_mul_f64 v[133:134], v[99:100], s[26:27]
	v_fma_f64 v[137:138], v[103:104], s[8:9], v[139:140]
	v_add_f64 v[119:120], v[119:120], v[123:124]
	v_add_f64 v[123:124], v[12:13], v[135:136]
	v_mul_f64 v[99:100], v[99:100], s[36:37]
	v_fma_f64 v[149:150], v[103:104], s[6:7], -v[32:33]
	v_fma_f64 v[139:140], v[103:104], s[8:9], -v[139:140]
	v_fma_f64 v[32:33], v[103:104], s[6:7], v[32:33]
	v_fma_f64 v[143:144], v[113:114], s[22:23], v[133:134]
	v_add_f64 v[137:138], v[4:5], v[137:138]
	v_mul_f64 v[135:136], v[111:112], s[38:39]
	v_add_f64 v[123:124], v[0:1], v[123:124]
	v_mul_f64 v[111:112], v[111:112], s[20:21]
	v_fma_f64 v[103:104], v[113:114], s[8:9], -v[99:100]
	v_fma_f64 v[133:134], v[113:114], s[22:23], -v[133:134]
	v_add_f64 v[139:140], v[4:5], v[139:140]
	v_fma_f64 v[99:100], v[113:114], s[8:9], v[99:100]
	v_add_f64 v[137:138], v[143:144], v[137:138]
	v_add_f64 v[143:144], v[4:5], v[149:150]
	;; [unrolled: 1-line block ×4, first 2 shown]
	v_fma_f64 v[32:33], v[117:118], s[16:17], -v[111:112]
	v_fma_f64 v[151:152], v[117:118], s[28:29], v[135:136]
	v_add_f64 v[133:134], v[133:134], v[139:140]
	v_fma_f64 v[111:112], v[117:118], s[16:17], v[111:112]
	v_mul_f64 v[145:146], v[97:98], s[14:15]
	v_add_f64 v[103:104], v[103:104], v[143:144]
	v_add_f64 v[113:114], v[20:21], v[123:124]
	v_fma_f64 v[123:124], v[117:118], s[28:29], -v[135:136]
	v_add_f64 v[4:5], v[99:100], v[4:5]
	v_mul_f64 v[97:98], v[97:98], s[34:35]
	v_fma_f64 v[99:100], v[101:102], s[22:23], -v[107:108]
	v_fma_f64 v[147:148], v[101:102], s[16:17], v[141:142]
	v_fma_f64 v[125:126], v[95:96], s[22:23], v[127:128]
	v_add_f64 v[32:33], v[32:33], v[103:104]
	v_add_f64 v[103:104], v[48:49], v[113:114]
	v_fma_f64 v[113:114], v[101:102], s[16:17], -v[141:142]
	v_add_f64 v[117:118], v[123:124], v[133:134]
	v_add_f64 v[123:124], v[151:152], v[137:138]
	v_fma_f64 v[101:102], v[101:102], s[22:23], v[107:108]
	v_add_f64 v[4:5], v[111:112], v[4:5]
	v_fma_f64 v[107:108], v[95:96], s[28:29], -v[97:98]
	v_add_f64 v[32:33], v[99:100], v[32:33]
	v_add_f64 v[99:100], v[56:57], v[103:104]
	v_fma_f64 v[127:128], v[95:96], s[22:23], -v[127:128]
	v_fma_f64 v[103:104], v[95:96], s[6:7], -v[145:146]
	v_add_f64 v[111:112], v[113:114], v[117:118]
	v_fma_f64 v[129:130], v[95:96], s[8:9], -v[129:130]
	v_fma_f64 v[113:114], v[95:96], s[6:7], v[145:146]
	v_add_f64 v[117:118], v[147:148], v[123:124]
	v_fma_f64 v[95:96], v[95:96], s[28:29], v[97:98]
	v_add_f64 v[4:5], v[101:102], v[4:5]
	v_add_f64 v[32:33], v[107:108], v[32:33]
	v_add_f64 v[97:98], v[60:61], v[99:100]
	v_add_f64 v[99:100], v[127:128], v[119:120]
	v_add_f64 v[101:102], v[103:104], v[111:112]
	v_add_f64 v[103:104], v[129:130], v[109:110]
	v_add_f64 v[107:108], v[125:126], v[131:132]
	v_add_f64 v[109:110], v[113:114], v[117:118]
	v_add_f64 v[4:5], v[95:96], v[4:5]
	v_add_u32_e32 v89, 0x2208, v94
	ds_write2_b64 v89, v[97:98], v[32:33] offset1:1
	v_add_u32_e32 v32, 0x2218, v94
	ds_write2_b64 v32, v[101:102], v[99:100] offset1:1
	;; [unrolled: 2-line block ×5, first 2 shown]
	ds_write_b64 v94, v[4:5] offset:8792
.LBB0_17:
	s_or_b64 exec, exec, s[40:41]
	v_add_f64 v[4:5], v[74:75], v[34:35]
	v_add_f64 v[32:33], v[72:73], -v[80:81]
	v_add_f64 v[72:73], v[82:83], v[74:75]
	v_add_f64 v[74:75], v[78:79], v[70:71]
	v_add_f64 v[68:69], v[68:69], -v[76:77]
	v_add_f64 v[64:65], v[64:65], -v[84:85]
	v_add_f64 v[76:77], v[86:87], v[66:67]
	v_add_f64 v[44:45], v[44:45], -v[52:53]
	v_add_f64 v[4:5], v[70:71], v[4:5]
	v_mul_f64 v[70:71], v[32:33], s[24:25]
	v_mul_f64 v[80:81], v[32:33], s[36:37]
	;; [unrolled: 1-line block ×7, first 2 shown]
	v_add_f64 v[4:5], v[66:67], v[4:5]
	v_mul_f64 v[101:102], v[68:69], s[38:39]
	v_mul_f64 v[66:67], v[68:69], s[30:31]
	;; [unrolled: 1-line block ×3, first 2 shown]
	v_fma_f64 v[109:110], v[72:73], s[6:7], v[70:71]
	v_fma_f64 v[70:71], v[72:73], s[6:7], -v[70:71]
	v_fma_f64 v[111:112], v[72:73], s[8:9], v[80:81]
	v_fma_f64 v[80:81], v[72:73], s[8:9], -v[80:81]
	v_add_f64 v[4:5], v[46:47], v[4:5]
	v_fma_f64 v[113:114], v[72:73], s[16:17], v[84:85]
	v_fma_f64 v[117:118], v[72:73], s[28:29], v[32:33]
	v_fma_f64 v[32:33], v[72:73], s[28:29], -v[32:33]
	v_mul_f64 v[103:104], v[64:65], s[20:21]
	v_mul_f64 v[105:106], v[64:65], s[38:39]
	;; [unrolled: 1-line block ×3, first 2 shown]
	v_fma_f64 v[84:85], v[72:73], s[16:17], -v[84:85]
	v_add_f64 v[4:5], v[30:31], v[4:5]
	v_fma_f64 v[115:116], v[72:73], s[22:23], v[95:96]
	v_fma_f64 v[95:96], v[72:73], s[22:23], -v[95:96]
	v_fma_f64 v[72:73], v[74:75], s[8:9], v[97:98]
	v_fma_f64 v[97:98], v[74:75], s[8:9], -v[97:98]
	;; [unrolled: 2-line block ×3, first 2 shown]
	v_fma_f64 v[121:122], v[74:75], s[28:29], v[101:102]
	v_add_f64 v[4:5], v[42:43], v[4:5]
	v_fma_f64 v[125:126], v[74:75], s[6:7], v[68:69]
	v_fma_f64 v[68:69], v[74:75], s[6:7], -v[68:69]
	v_add_f64 v[109:110], v[34:35], v[109:110]
	v_add_f64 v[70:71], v[34:35], v[70:71]
	;; [unrolled: 1-line block ×7, first 2 shown]
	v_fma_f64 v[101:102], v[74:75], s[28:29], -v[101:102]
	v_fma_f64 v[123:124], v[74:75], s[16:17], v[66:67]
	v_fma_f64 v[66:67], v[74:75], s[16:17], -v[66:67]
	v_fma_f64 v[74:75], v[76:77], s[16:17], v[103:104]
	;; [unrolled: 2-line block ×3, first 2 shown]
	v_add_f64 v[4:5], v[86:87], v[4:5]
	v_fma_f64 v[105:106], v[76:77], s[28:29], -v[105:106]
	v_add_f64 v[84:85], v[34:35], v[84:85]
	v_add_f64 v[86:87], v[34:35], v[115:116]
	;; [unrolled: 1-line block ×11, first 2 shown]
	v_mul_f64 v[52:53], v[64:65], s[24:25]
	v_fma_f64 v[68:69], v[76:77], s[8:9], v[107:108]
	v_mul_f64 v[64:65], v[64:65], s[26:27]
	v_add_f64 v[84:85], v[101:102], v[84:85]
	v_add_f64 v[66:67], v[66:67], v[95:96]
	;; [unrolled: 1-line block ×7, first 2 shown]
	v_fma_f64 v[74:75], v[76:77], s[8:9], -v[107:108]
	v_add_f64 v[46:47], v[54:55], v[46:47]
	v_mul_f64 v[54:55], v[44:45], s[26:27]
	v_fma_f64 v[78:79], v[76:77], s[6:7], v[52:53]
	v_add_f64 v[68:69], v[68:69], v[80:81]
	v_fma_f64 v[52:53], v[76:77], s[6:7], -v[52:53]
	v_mul_f64 v[80:81], v[44:45], s[30:31]
	v_fma_f64 v[82:83], v[76:77], s[22:23], v[64:65]
	v_fma_f64 v[64:65], v[76:77], s[22:23], -v[64:65]
	v_add_f64 v[74:75], v[74:75], v[84:85]
	v_fma_f64 v[76:77], v[46:47], s[22:23], v[54:55]
	v_fma_f64 v[54:55], v[46:47], s[22:23], -v[54:55]
	v_mul_f64 v[84:85], v[44:45], s[24:25]
	v_add_f64 v[52:53], v[52:53], v[66:67]
	v_fma_f64 v[66:67], v[46:47], s[16:17], v[80:81]
	v_add_f64 v[28:29], v[28:29], -v[40:41]
	v_add_f64 v[32:33], v[64:65], v[32:33]
	v_mul_f64 v[64:65], v[44:45], s[34:35]
	v_mul_f64 v[44:45], v[44:45], s[18:19]
	v_add_f64 v[34:35], v[54:55], v[34:35]
	v_fma_f64 v[54:55], v[46:47], s[16:17], -v[80:81]
	v_add_f64 v[30:31], v[42:43], v[30:31]
	v_add_f64 v[40:41], v[66:67], v[70:71]
	v_fma_f64 v[66:67], v[46:47], s[6:7], v[84:85]
	v_mul_f64 v[42:43], v[28:29], s[34:35]
	v_add_f64 v[4:5], v[76:77], v[4:5]
	v_fma_f64 v[70:71], v[46:47], s[6:7], -v[84:85]
	v_fma_f64 v[76:77], v[46:47], s[28:29], v[64:65]
	v_fma_f64 v[64:65], v[46:47], s[28:29], -v[64:65]
	v_add_f64 v[86:87], v[123:124], v[86:87]
	v_add_f64 v[95:96], v[125:126], v[115:116]
	;; [unrolled: 1-line block ×4, first 2 shown]
	v_fma_f64 v[68:69], v[46:47], s[8:9], v[44:45]
	v_fma_f64 v[44:45], v[46:47], s[8:9], -v[44:45]
	v_fma_f64 v[72:73], v[30:31], s[28:29], v[42:43]
	v_add_f64 v[70:71], v[70:71], v[74:75]
	v_add_f64 v[52:53], v[64:65], v[52:53]
	v_fma_f64 v[42:43], v[30:31], s[28:29], -v[42:43]
	v_mul_f64 v[64:65], v[28:29], s[14:15]
	v_mul_f64 v[74:75], v[28:29], s[26:27]
	v_add_f64 v[78:79], v[78:79], v[86:87]
	v_add_f64 v[82:83], v[82:83], v[95:96]
	;; [unrolled: 1-line block ×3, first 2 shown]
	v_mul_f64 v[44:45], v[28:29], s[18:19]
	v_add_f64 v[95:96], v[72:73], v[4:5]
	v_mul_f64 v[4:5], v[28:29], s[20:21]
	v_add_f64 v[99:100], v[42:43], v[34:35]
	v_fma_f64 v[28:29], v[30:31], s[6:7], v[64:65]
	v_fma_f64 v[42:43], v[30:31], s[22:23], v[74:75]
	v_add_f64 v[46:47], v[76:77], v[78:79]
	v_add_f64 v[68:69], v[68:69], v[82:83]
	v_fma_f64 v[34:35], v[30:31], s[6:7], -v[64:65]
	v_fma_f64 v[64:65], v[30:31], s[22:23], -v[74:75]
	v_fma_f64 v[72:73], v[30:31], s[8:9], v[44:45]
	v_fma_f64 v[74:75], v[30:31], s[16:17], v[4:5]
	v_fma_f64 v[44:45], v[30:31], s[8:9], -v[44:45]
	v_fma_f64 v[4:5], v[30:31], s[16:17], -v[4:5]
	s_movk_i32 s6, 0xffb0
	v_add_f64 v[101:102], v[28:29], v[40:41]
	v_add_f64 v[105:106], v[42:43], v[66:67]
	v_mad_i32_i24 v80, v88, s6, v94
	v_add_f64 v[109:110], v[72:73], v[46:47]
	v_add_f64 v[113:114], v[74:75], v[68:69]
	v_add_u32_e32 v82, 0x1000, v80
	v_add_u32_e32 v81, 0x2400, v80
	v_add_u32_e32 v84, 0x400, v80
	v_add_u32_e32 v85, 0x1800, v80
	v_add_u32_e32 v83, 0x2800, v80
	v_add_u32_e32 v89, 0x800, v80
	v_add_u32_e32 v86, 0x1c00, v80
	v_add_u32_e32 v87, 0x3000, v80
	v_add_f64 v[103:104], v[34:35], v[54:55]
	v_add_f64 v[107:108], v[64:65], v[70:71]
	;; [unrolled: 1-line block ×4, first 2 shown]
	s_waitcnt lgkmcnt(0)
	s_barrier
	ds_read2_b64 v[40:43], v80 offset1:99
	ds_read2_b64 v[64:67], v82 offset0:82 offset1:181
	ds_read2_b64 v[68:71], v81 offset0:36 offset1:135
	;; [unrolled: 1-line block ×8, first 2 shown]
	v_add_u32_e32 v4, 0x63, v88
	s_movk_i32 s33, 0x1000
	s_waitcnt lgkmcnt(0)
	s_barrier
	ds_write2_b64 v94, v[97:98], v[95:96] offset1:1
	ds_write2_b64 v94, v[101:102], v[105:106] offset0:2 offset1:3
	ds_write2_b64 v94, v[109:110], v[113:114] offset0:4 offset1:5
	;; [unrolled: 1-line block ×4, first 2 shown]
	ds_write_b64 v94, v[99:100] offset:80
	s_and_saveexec_b64 s[6:7], s[0:1]
	s_cbranch_execz .LBB0_19
; %bb.18:
	v_add_f64 v[94:95], v[38:39], v[6:7]
	v_add_f64 v[36:37], v[36:37], -v[60:61]
	v_add_f64 v[24:25], v[24:25], -v[56:57]
	s_mov_b32 s26, 0xf8bb580b
	s_mov_b32 s18, 0x43842ef
	;; [unrolled: 1-line block ×5, first 2 shown]
	v_add_f64 v[60:61], v[26:27], v[94:95]
	s_mov_b32 s17, 0xbfed1bb4
	s_mov_b32 s16, 0x8eee2c13
	;; [unrolled: 1-line block ×5, first 2 shown]
	v_add_f64 v[38:39], v[62:63], v[38:39]
	v_mul_f64 v[94:95], v[36:37], s[16:17]
	v_add_f64 v[60:61], v[10:11], v[60:61]
	v_mul_f64 v[96:97], v[36:37], s[18:19]
	v_mul_f64 v[98:99], v[36:37], s[22:23]
	s_mov_b32 s0, 0x8764f0ba
	s_mov_b32 s14, 0x640f44db
	;; [unrolled: 1-line block ×5, first 2 shown]
	v_add_f64 v[60:61], v[14:15], v[60:61]
	s_mov_b32 s15, 0xbfc2375f
	s_mov_b32 s21, 0xbfe4f49e
	;; [unrolled: 1-line block ×5, first 2 shown]
	v_add_f64 v[26:27], v[58:59], v[26:27]
	v_mul_f64 v[100:101], v[24:25], s[16:17]
	v_add_f64 v[56:57], v[2:3], v[60:61]
	v_mul_f64 v[60:61], v[36:37], s[26:27]
	v_mul_f64 v[36:37], v[36:37], s[28:29]
	;; [unrolled: 1-line block ×4, first 2 shown]
	v_fma_f64 v[110:111], v[38:39], s[8:9], v[94:95]
	v_fma_f64 v[94:95], v[38:39], s[8:9], -v[94:95]
	v_fma_f64 v[112:113], v[38:39], s[14:15], v[96:97]
	v_add_f64 v[56:57], v[18:19], v[56:57]
	v_fma_f64 v[108:109], v[38:39], s[0:1], v[60:61]
	v_fma_f64 v[60:61], v[38:39], s[0:1], -v[60:61]
	v_fma_f64 v[96:97], v[38:39], s[14:15], -v[96:97]
	v_fma_f64 v[114:115], v[38:39], s[20:21], v[98:99]
	v_fma_f64 v[98:99], v[38:39], s[20:21], -v[98:99]
	v_fma_f64 v[116:117], v[38:39], s[24:25], v[36:37]
	v_fma_f64 v[36:37], v[38:39], s[24:25], -v[36:37]
	v_add_f64 v[56:57], v[22:23], v[56:57]
	s_mov_b32 s35, 0x3fefac9e
	s_mov_b32 s34, s18
	;; [unrolled: 1-line block ×4, first 2 shown]
	v_mul_f64 v[106:107], v[24:25], s[34:35]
	v_fma_f64 v[38:39], v[26:27], s[8:9], v[100:101]
	v_fma_f64 v[100:101], v[26:27], s[8:9], -v[100:101]
	v_add_f64 v[56:57], v[50:51], v[56:57]
	v_add_f64 v[108:109], v[6:7], v[108:109]
	;; [unrolled: 1-line block ×12, first 2 shown]
	v_add_f64 v[7:8], v[8:9], -v[48:49]
	v_mul_f64 v[24:25], v[24:25], s[30:31]
	v_fma_f64 v[48:49], v[26:27], s[24:25], -v[104:105]
	v_fma_f64 v[118:119], v[26:27], s[20:21], v[102:103]
	v_add_f64 v[56:57], v[62:63], v[56:57]
	v_fma_f64 v[62:63], v[26:27], s[20:21], -v[102:103]
	v_add_f64 v[36:37], v[38:39], v[108:109]
	v_add_f64 v[38:39], v[100:101], v[60:61]
	v_fma_f64 v[100:101], v[26:27], s[24:25], v[104:105]
	v_fma_f64 v[102:103], v[26:27], s[14:15], v[106:107]
	v_add_f64 v[9:10], v[50:51], v[10:11]
	v_mul_f64 v[50:51], v[7:8], s[18:19]
	v_fma_f64 v[104:105], v[26:27], s[0:1], v[24:25]
	v_add_f64 v[62:63], v[62:63], v[94:95]
	v_fma_f64 v[94:95], v[26:27], s[14:15], -v[106:107]
	v_add_f64 v[48:49], v[48:49], v[96:97]
	v_mul_f64 v[96:97], v[7:8], s[36:37]
	s_mov_b32 s17, 0x3fed1bb4
	v_add_f64 v[60:61], v[118:119], v[110:111]
	v_add_f64 v[58:59], v[102:103], v[58:59]
	v_fma_f64 v[24:25], v[26:27], s[0:1], -v[24:25]
	v_fma_f64 v[26:27], v[9:10], s[14:15], v[50:51]
	v_add_f64 v[94:95], v[94:95], v[98:99]
	v_fma_f64 v[50:51], v[9:10], s[14:15], -v[50:51]
	v_add_f64 v[98:99], v[104:105], v[114:115]
	v_mul_f64 v[102:103], v[7:8], s[16:17]
	v_fma_f64 v[104:105], v[9:10], s[24:25], v[96:97]
	v_add_f64 v[11:12], v[12:13], -v[20:21]
	v_add_f64 v[100:101], v[100:101], v[112:113]
	v_fma_f64 v[96:97], v[9:10], s[24:25], -v[96:97]
	v_add_f64 v[5:6], v[24:25], v[5:6]
	v_add_f64 v[24:25], v[26:27], v[36:37]
	;; [unrolled: 1-line block ×3, first 2 shown]
	v_mul_f64 v[20:21], v[7:8], s[26:27]
	v_fma_f64 v[36:37], v[9:10], s[8:9], v[102:103]
	v_add_f64 v[38:39], v[104:105], v[60:61]
	v_mul_f64 v[7:8], v[7:8], s[22:23]
	v_fma_f64 v[60:61], v[9:10], s[8:9], -v[102:103]
	v_add_f64 v[13:14], v[22:23], v[14:15]
	v_mul_f64 v[22:23], v[11:12], s[22:23]
	v_add_f64 v[50:51], v[96:97], v[62:63]
	v_fma_f64 v[62:63], v[9:10], s[0:1], v[20:21]
	v_add_f64 v[36:37], v[36:37], v[100:101]
	v_fma_f64 v[20:21], v[9:10], s[0:1], -v[20:21]
	v_mul_f64 v[96:97], v[11:12], s[34:35]
	v_fma_f64 v[100:101], v[9:10], s[20:21], v[7:8]
	v_fma_f64 v[7:8], v[9:10], s[20:21], -v[7:8]
	v_add_f64 v[9:10], v[60:61], v[48:49]
	v_fma_f64 v[48:49], v[13:14], s[20:21], v[22:23]
	v_fma_f64 v[22:23], v[13:14], s[20:21], -v[22:23]
	v_add_f64 v[0:1], v[0:1], -v[16:17]
	v_add_f64 v[58:59], v[62:63], v[58:59]
	v_fma_f64 v[60:61], v[13:14], s[14:15], v[96:97]
	v_add_f64 v[20:21], v[20:21], v[94:95]
	v_add_f64 v[5:6], v[7:8], v[5:6]
	v_mul_f64 v[7:8], v[11:12], s[26:27]
	v_add_f64 v[24:25], v[48:49], v[24:25]
	v_mul_f64 v[48:49], v[11:12], s[28:29]
	v_add_f64 v[22:23], v[22:23], v[26:27]
	v_fma_f64 v[26:27], v[13:14], s[14:15], -v[96:97]
	v_mul_f64 v[11:12], v[11:12], s[16:17]
	v_add_f64 v[62:63], v[100:101], v[98:99]
	v_add_f64 v[15:16], v[60:61], v[38:39]
	v_fma_f64 v[38:39], v[13:14], s[0:1], v[7:8]
	v_fma_f64 v[7:8], v[13:14], s[0:1], -v[7:8]
	v_fma_f64 v[60:61], v[13:14], s[24:25], v[48:49]
	v_add_f64 v[2:3], v[18:19], v[2:3]
	v_mul_f64 v[17:18], v[0:1], s[28:29]
	v_fma_f64 v[48:49], v[13:14], s[24:25], -v[48:49]
	v_add_f64 v[26:27], v[26:27], v[50:51]
	v_fma_f64 v[50:51], v[13:14], s[8:9], v[11:12]
	v_add_f64 v[36:37], v[38:39], v[36:37]
	v_add_f64 v[7:8], v[7:8], v[9:10]
	v_fma_f64 v[9:10], v[13:14], s[8:9], -v[11:12]
	v_mul_f64 v[38:39], v[0:1], s[30:31]
	v_fma_f64 v[13:14], v[2:3], s[24:25], v[17:18]
	v_add_f64 v[19:20], v[48:49], v[20:21]
	v_add_f64 v[11:12], v[60:61], v[58:59]
	;; [unrolled: 1-line block ×3, first 2 shown]
	v_mul_f64 v[50:51], v[0:1], s[22:23]
	v_mul_f64 v[58:59], v[0:1], s[16:17]
	;; [unrolled: 1-line block ×3, first 2 shown]
	v_add_f64 v[5:6], v[9:10], v[5:6]
	v_add_f64 v[9:10], v[13:14], v[24:25]
	v_fma_f64 v[13:14], v[2:3], s[24:25], -v[17:18]
	v_fma_f64 v[17:18], v[2:3], s[0:1], v[38:39]
	v_fma_f64 v[24:25], v[2:3], s[0:1], -v[38:39]
	v_fma_f64 v[38:39], v[2:3], s[20:21], v[50:51]
	v_fma_f64 v[60:61], v[2:3], s[8:9], v[58:59]
	;; [unrolled: 1-line block ×3, first 2 shown]
	v_fma_f64 v[58:59], v[2:3], s[8:9], -v[58:59]
	v_fma_f64 v[0:1], v[2:3], s[14:15], -v[0:1]
	;; [unrolled: 1-line block ×3, first 2 shown]
	v_add_f64 v[15:16], v[17:18], v[15:16]
	v_add_f64 v[17:18], v[24:25], v[26:27]
	;; [unrolled: 1-line block ×9, first 2 shown]
	s_movk_i32 s0, 0x58
	v_mad_u32_u24 v7, v4, s0, 0
	ds_write2_b64 v7, v[56:57], v[9:10] offset1:1
	ds_write2_b64 v7, v[15:16], v[24:25] offset0:2 offset1:3
	ds_write2_b64 v7, v[11:12], v[26:27] offset0:4 offset1:5
	ds_write2_b64 v7, v[0:1], v[19:20] offset0:6 offset1:7
	ds_write2_b64 v7, v[2:3], v[17:18] offset0:8 offset1:9
	ds_write_b64 v7, v[5:6] offset:80
.LBB0_19:
	s_or_b64 exec, exec, s[6:7]
	s_movk_i32 s0, 0x75
	v_mul_lo_u16_sdwa v2, v88, s0 dst_sel:DWORD dst_unused:UNUSED_PAD src0_sel:BYTE_0 src1_sel:DWORD
	v_sub_u16_sdwa v5, v88, v2 dst_sel:DWORD dst_unused:UNUSED_PAD src0_sel:DWORD src1_sel:BYTE_1
	v_lshrrev_b16_e32 v5, 1, v5
	v_and_b32_e32 v5, 0x7f, v5
	v_add_u16_sdwa v2, v5, v2 dst_sel:DWORD dst_unused:UNUSED_PAD src0_sel:DWORD src1_sel:BYTE_1
	v_lshrrev_b16_e32 v158, 3, v2
	v_mul_lo_u16_e32 v2, 11, v158
	v_sub_u16_e32 v159, v88, v2
	v_mov_b32_e32 v5, 5
	v_lshlrev_b32_sdwa v2, v5, v159 dst_sel:DWORD dst_unused:UNUSED_PAD src0_sel:DWORD src1_sel:BYTE_0
	s_waitcnt lgkmcnt(0)
	s_barrier
	global_load_dwordx4 v[6:9], v2, s[12:13] offset:16
	global_load_dwordx4 v[10:13], v2, s[12:13]
	v_mul_lo_u16_sdwa v2, v4, s0 dst_sel:DWORD dst_unused:UNUSED_PAD src0_sel:BYTE_0 src1_sel:DWORD
	v_sub_u16_sdwa v14, v4, v2 dst_sel:DWORD dst_unused:UNUSED_PAD src0_sel:DWORD src1_sel:BYTE_1
	v_add_u32_e32 v3, 0xc6, v88
	v_lshrrev_b16_e32 v14, 1, v14
	s_mov_b32 s0, 0xba2f
	v_and_b32_e32 v26, 0x7f, v14
	v_mul_u32_u24_sdwa v14, v3, s0 dst_sel:DWORD dst_unused:UNUSED_PAD src0_sel:WORD_0 src1_sel:DWORD
	v_lshrrev_b32_e32 v160, 19, v14
	v_mul_lo_u16_e32 v14, 11, v160
	v_sub_u16_e32 v161, v3, v14
	v_add_u32_e32 v0, 0x129, v88
	v_lshlrev_b32_e32 v22, 5, v161
	global_load_dwordx4 v[14:17], v22, s[12:13] offset:16
	global_load_dwordx4 v[18:21], v22, s[12:13]
	v_mul_u32_u24_sdwa v22, v0, s0 dst_sel:DWORD dst_unused:UNUSED_PAD src0_sel:WORD_0 src1_sel:DWORD
	v_lshrrev_b32_e32 v162, 19, v22
	v_mul_lo_u16_e32 v22, 11, v162
	v_sub_u16_e32 v163, v0, v22
	v_add_u32_e32 v1, 0x18c, v88
	v_lshlrev_b32_e32 v27, 5, v163
	global_load_dwordx4 v[22:25], v27, s[12:13] offset:16
	global_load_dwordx4 v[36:39], v27, s[12:13]
	v_mul_u32_u24_sdwa v27, v1, s0 dst_sel:DWORD dst_unused:UNUSED_PAD src0_sel:WORD_0 src1_sel:DWORD
	v_add_u16_sdwa v2, v26, v2 dst_sel:DWORD dst_unused:UNUSED_PAD src0_sel:DWORD src1_sel:BYTE_1
	v_lshrrev_b32_e32 v164, 19, v27
	v_lshrrev_b16_e32 v166, 3, v2
	v_mul_lo_u16_e32 v27, 11, v164
	v_mul_lo_u16_e32 v2, 11, v166
	v_sub_u16_e32 v165, v1, v27
	v_sub_u16_e32 v167, v4, v2
	v_lshlrev_b32_e32 v27, 5, v165
	v_lshlrev_b32_sdwa v2, v5, v167 dst_sel:DWORD dst_unused:UNUSED_PAD src0_sel:DWORD src1_sel:BYTE_0
	global_load_dwordx4 v[48:51], v27, s[12:13]
	global_load_dwordx4 v[56:59], v2, s[12:13]
	global_load_dwordx4 v[60:63], v2, s[12:13] offset:16
	global_load_dwordx4 v[94:97], v27, s[12:13] offset:16
	v_add_u32_e32 v2, 0x1ef, v88
	v_mul_u32_u24_sdwa v26, v2, s0 dst_sel:DWORD dst_unused:UNUSED_PAD src0_sel:WORD_0 src1_sel:DWORD
	v_lshrrev_b32_e32 v168, 19, v26
	v_mul_lo_u16_e32 v26, 11, v168
	v_sub_u16_e32 v169, v2, v26
	v_lshlrev_b32_e32 v26, 5, v169
	global_load_dwordx4 v[98:101], v26, s[12:13]
	global_load_dwordx4 v[102:105], v26, s[12:13] offset:16
	ds_read2_b64 v[106:109], v80 offset1:99
	ds_read2_b64 v[110:113], v82 offset0:82 offset1:181
	ds_read2_b64 v[114:117], v81 offset0:36 offset1:135
	ds_read2_b64 v[118:121], v84 offset0:70 offset1:169
	ds_read2_b64 v[122:125], v85 offset0:24 offset1:123
	ds_read2_b64 v[126:129], v83 offset0:106 offset1:205
	ds_read2_b64 v[130:133], v89 offset0:140 offset1:239
	ds_read2_b64 v[134:137], v86 offset0:94 offset1:193
	ds_read2_b64 v[138:141], v87 offset0:48 offset1:147
	s_mov_b32 s6, 0xe8584caa
	s_mov_b32 s7, 0x3febb67a
	;; [unrolled: 1-line block ×4, first 2 shown]
	s_waitcnt vmcnt(0) lgkmcnt(0)
	s_barrier
	s_movk_i32 s0, 0xf9
	s_movk_i32 s14, 0x11e0
	v_mul_f64 v[152:153], v[114:115], v[8:9]
	v_mul_f64 v[150:151], v[110:111], v[12:13]
	;; [unrolled: 1-line block ×12, first 2 shown]
	v_fma_f64 v[26:27], v[76:77], v[18:19], -v[26:27]
	v_fma_f64 v[18:19], v[122:123], v[18:19], v[20:21]
	v_fma_f64 v[20:21], v[72:73], v[14:15], -v[142:143]
	v_fma_f64 v[14:15], v[126:127], v[14:15], v[16:17]
	;; [unrolled: 2-line block ×3, first 2 shown]
	v_fma_f64 v[12:13], v[68:69], v[6:7], -v[152:153]
	v_mul_f64 v[154:155], v[112:113], v[58:59]
	v_mul_f64 v[148:149], v[134:135], v[50:51]
	;; [unrolled: 1-line block ×6, first 2 shown]
	v_fma_f64 v[6:7], v[114:115], v[6:7], v[8:9]
	v_fma_f64 v[64:65], v[74:75], v[22:23], -v[146:147]
	v_fma_f64 v[8:9], v[66:67], v[56:57], -v[154:155]
	v_mul_f64 v[68:69], v[140:141], v[104:105]
	v_fma_f64 v[22:23], v[128:129], v[22:23], v[24:25]
	v_fma_f64 v[56:57], v[112:113], v[56:57], v[58:59]
	v_fma_f64 v[58:59], v[70:71], v[60:61], -v[156:157]
	v_fma_f64 v[60:61], v[116:117], v[60:61], v[62:63]
	v_fma_f64 v[62:63], v[78:79], v[36:37], -v[144:145]
	v_fma_f64 v[36:37], v[124:125], v[36:37], v[38:39]
	v_mul_f64 v[38:39], v[138:139], v[96:97]
	v_fma_f64 v[24:25], v[52:53], v[48:49], -v[148:149]
	v_fma_f64 v[48:49], v[134:135], v[48:49], v[50:51]
	v_mul_f64 v[50:51], v[136:137], v[100:101]
	v_add_f64 v[66:67], v[16:17], v[12:13]
	v_mul_f64 v[70:71], v[46:47], v[104:105]
	v_add_f64 v[72:73], v[40:41], v[16:17]
	v_fma_f64 v[46:47], v[46:47], v[102:103], -v[68:69]
	v_add_f64 v[68:69], v[10:11], v[6:7]
	v_mul_f64 v[52:53], v[44:45], v[96:97]
	v_fma_f64 v[38:39], v[44:45], v[94:95], -v[38:39]
	v_mul_f64 v[44:45], v[54:55], v[100:101]
	v_fma_f64 v[50:51], v[54:55], v[98:99], -v[50:51]
	v_fma_f64 v[40:41], v[66:67], -0.5, v[40:41]
	v_add_f64 v[54:55], v[10:11], -v[6:7]
	v_fma_f64 v[66:67], v[140:141], v[102:103], v[70:71]
	v_add_f64 v[70:71], v[72:73], v[12:13]
	v_add_f64 v[10:11], v[106:107], v[10:11]
	;; [unrolled: 1-line block ×3, first 2 shown]
	v_fma_f64 v[68:69], v[68:69], -0.5, v[106:107]
	v_add_f64 v[12:13], v[16:17], -v[12:13]
	v_fma_f64 v[52:53], v[138:139], v[94:95], v[52:53]
	v_fma_f64 v[72:73], v[54:55], s[6:7], v[40:41]
	;; [unrolled: 1-line block ×3, first 2 shown]
	v_add_f64 v[40:41], v[42:43], v[8:9]
	v_add_f64 v[54:55], v[10:11], v[6:7]
	;; [unrolled: 1-line block ×3, first 2 shown]
	v_fma_f64 v[10:11], v[74:75], -0.5, v[42:43]
	v_add_f64 v[42:43], v[56:57], -v[60:61]
	v_fma_f64 v[74:75], v[12:13], s[8:9], v[68:69]
	v_fma_f64 v[68:69], v[12:13], s[6:7], v[68:69]
	v_add_f64 v[12:13], v[108:109], v[56:57]
	v_add_f64 v[56:57], v[26:27], v[20:21]
	;; [unrolled: 1-line block ×3, first 2 shown]
	v_fma_f64 v[6:7], v[6:7], -0.5, v[108:109]
	v_add_f64 v[8:9], v[8:9], -v[58:59]
	v_fma_f64 v[58:59], v[42:43], s[6:7], v[10:11]
	v_fma_f64 v[10:11], v[42:43], s[8:9], v[10:11]
	v_add_f64 v[42:43], v[32:33], v[26:27]
	v_add_f64 v[60:61], v[12:13], v[60:61]
	;; [unrolled: 1-line block ×3, first 2 shown]
	v_fma_f64 v[32:33], v[56:57], -0.5, v[32:33]
	v_add_f64 v[56:57], v[18:19], -v[14:15]
	v_add_f64 v[18:19], v[118:119], v[18:19]
	v_fma_f64 v[76:77], v[8:9], s[8:9], v[6:7]
	v_fma_f64 v[78:79], v[8:9], s[6:7], v[6:7]
	v_add_f64 v[6:7], v[42:43], v[20:21]
	v_add_f64 v[20:21], v[26:27], -v[20:21]
	v_fma_f64 v[12:13], v[12:13], -0.5, v[118:119]
	v_add_f64 v[94:95], v[24:25], v[38:39]
	v_fma_f64 v[26:27], v[56:57], s[6:7], v[32:33]
	v_add_f64 v[42:43], v[18:19], v[14:15]
	v_add_f64 v[14:15], v[36:37], v[22:23]
	v_fma_f64 v[32:33], v[56:57], s[8:9], v[32:33]
	v_add_f64 v[8:9], v[62:63], v[64:65]
	v_fma_f64 v[44:45], v[136:137], v[98:99], v[44:45]
	v_fma_f64 v[56:57], v[20:21], s[8:9], v[12:13]
	;; [unrolled: 1-line block ×3, first 2 shown]
	v_add_f64 v[12:13], v[120:121], v[36:37]
	v_add_f64 v[20:21], v[62:63], -v[64:65]
	v_fma_f64 v[14:15], v[14:15], -0.5, v[120:121]
	v_add_f64 v[18:19], v[34:35], v[62:63]
	v_add_f64 v[62:63], v[28:29], v[24:25]
	v_fma_f64 v[28:29], v[94:95], -0.5, v[28:29]
	v_fma_f64 v[8:9], v[8:9], -0.5, v[34:35]
	v_add_f64 v[34:35], v[36:37], -v[22:23]
	v_add_f64 v[94:95], v[12:13], v[22:23]
	v_add_f64 v[12:13], v[48:49], v[52:53]
	v_fma_f64 v[98:99], v[20:21], s[8:9], v[14:15]
	v_fma_f64 v[100:101], v[20:21], s[6:7], v[14:15]
	v_add_f64 v[20:21], v[50:51], v[46:47]
	v_add_f64 v[18:19], v[18:19], v[64:65]
	v_add_f64 v[64:65], v[48:49], -v[52:53]
	v_add_f64 v[14:15], v[62:63], v[38:39]
	v_add_f64 v[48:49], v[130:131], v[48:49]
	v_fma_f64 v[12:13], v[12:13], -0.5, v[130:131]
	v_add_f64 v[24:25], v[24:25], -v[38:39]
	v_add_f64 v[38:39], v[30:31], v[50:51]
	v_fma_f64 v[20:21], v[20:21], -0.5, v[30:31]
	v_add_f64 v[30:31], v[44:45], -v[66:67]
	v_fma_f64 v[36:37], v[34:35], s[6:7], v[8:9]
	v_fma_f64 v[8:9], v[34:35], s[8:9], v[8:9]
	v_add_f64 v[34:35], v[44:45], v[66:67]
	v_mov_b32_e32 v144, 3
	v_add_f64 v[44:45], v[132:133], v[44:45]
	v_add_f64 v[48:49], v[48:49], v[52:53]
	v_fma_f64 v[52:53], v[24:25], s[8:9], v[12:13]
	v_fma_f64 v[62:63], v[24:25], s[6:7], v[12:13]
	;; [unrolled: 1-line block ×4, first 2 shown]
	v_mul_u32_u24_e32 v30, 0x108, v158
	v_lshlrev_b32_sdwa v31, v144, v159 dst_sel:DWORD dst_unused:UNUSED_PAD src0_sel:DWORD src1_sel:BYTE_0
	v_fma_f64 v[22:23], v[64:65], s[6:7], v[28:29]
	v_fma_f64 v[28:29], v[64:65], s[8:9], v[28:29]
	v_add3_u32 v64, 0, v30, v31
	v_fma_f64 v[34:35], v[34:35], -0.5, v[132:133]
	v_add_f64 v[50:51], v[50:51], -v[46:47]
	v_add_f64 v[12:13], v[38:39], v[46:47]
	ds_write2_b64 v64, v[70:71], v[72:73] offset1:11
	ds_write_b64 v64, v[16:17] offset:176
	v_mul_u32_u24_e32 v16, 0x108, v166
	v_lshlrev_b32_sdwa v17, v144, v167 dst_sel:DWORD dst_unused:UNUSED_PAD src0_sel:DWORD src1_sel:BYTE_0
	v_add3_u32 v65, 0, v16, v17
	ds_write2_b64 v65, v[40:41], v[58:59] offset1:11
	ds_write_b64 v65, v[10:11] offset:176
	v_mul_u32_u24_e32 v10, 0x108, v160
	v_lshlrev_b32_e32 v11, 3, v161
	v_add3_u32 v58, 0, v10, v11
	ds_write2_b64 v58, v[6:7], v[26:27] offset1:11
	ds_write_b64 v58, v[32:33] offset:176
	v_mul_u32_u24_e32 v6, 0x108, v162
	v_lshlrev_b32_e32 v7, 3, v163
	v_add3_u32 v59, 0, v6, v7
	v_mul_u32_u24_e32 v6, 0x108, v164
	v_lshlrev_b32_e32 v7, 3, v165
	v_add_f64 v[44:45], v[44:45], v[66:67]
	v_add3_u32 v66, 0, v6, v7
	v_mul_u32_u24_e32 v6, 0x108, v168
	v_lshlrev_b32_e32 v7, 3, v169
	v_add3_u32 v67, 0, v6, v7
	v_fma_f64 v[46:47], v[50:51], s[8:9], v[34:35]
	v_fma_f64 v[50:51], v[50:51], s[6:7], v[34:35]
	ds_write2_b64 v59, v[18:19], v[36:37] offset1:11
	ds_write_b64 v59, v[8:9] offset:176
	ds_write2_b64 v66, v[14:15], v[22:23] offset1:11
	ds_write_b64 v66, v[28:29] offset:176
	;; [unrolled: 2-line block ×3, first 2 shown]
	s_waitcnt lgkmcnt(0)
	s_barrier
	ds_read2_b64 v[6:9], v80 offset1:99
	ds_read2_b64 v[10:13], v82 offset0:82 offset1:181
	ds_read2_b64 v[14:17], v81 offset0:36 offset1:135
	;; [unrolled: 1-line block ×8, first 2 shown]
	s_waitcnt lgkmcnt(0)
	s_barrier
	ds_write2_b64 v64, v[54:55], v[74:75] offset1:11
	ds_write_b64 v64, v[68:69] offset:176
	ds_write2_b64 v65, v[60:61], v[76:77] offset1:11
	ds_write_b64 v65, v[78:79] offset:176
	;; [unrolled: 2-line block ×6, first 2 shown]
	v_mul_lo_u16_sdwa v42, v88, s0 dst_sel:DWORD dst_unused:UNUSED_PAD src0_sel:BYTE_0 src1_sel:DWORD
	v_lshrrev_b16_e32 v145, 13, v42
	v_mul_lo_u16_e32 v42, 33, v145
	v_sub_u16_e32 v146, v88, v42
	v_lshlrev_b32_sdwa v46, v5, v146 dst_sel:DWORD dst_unused:UNUSED_PAD src0_sel:DWORD src1_sel:BYTE_0
	s_waitcnt lgkmcnt(0)
	s_barrier
	global_load_dwordx4 v[42:45], v46, s[12:13] offset:352
	s_nop 0
	global_load_dwordx4 v[46:49], v46, s[12:13] offset:368
	v_mul_lo_u16_sdwa v50, v4, s0 dst_sel:DWORD dst_unused:UNUSED_PAD src0_sel:BYTE_0 src1_sel:DWORD
	v_lshrrev_b16_e32 v147, 13, v50
	v_mul_lo_u16_e32 v50, 33, v147
	v_sub_u16_e32 v148, v4, v50
	v_lshlrev_b32_sdwa v5, v5, v148 dst_sel:DWORD dst_unused:UNUSED_PAD src0_sel:DWORD src1_sel:BYTE_0
	global_load_dwordx4 v[50:53], v5, s[12:13] offset:368
	global_load_dwordx4 v[54:57], v5, s[12:13] offset:352
	s_mov_b32 s0, 0xf83f
	v_mul_u32_u24_sdwa v5, v3, s0 dst_sel:DWORD dst_unused:UNUSED_PAD src0_sel:WORD_0 src1_sel:DWORD
	v_lshrrev_b32_e32 v149, 21, v5
	v_mul_lo_u16_e32 v5, 33, v149
	v_sub_u16_e32 v150, v3, v5
	v_lshlrev_b32_e32 v5, 5, v150
	global_load_dwordx4 v[58:61], v5, s[12:13] offset:352
	global_load_dwordx4 v[62:65], v5, s[12:13] offset:368
	v_mul_u32_u24_sdwa v5, v0, s0 dst_sel:DWORD dst_unused:UNUSED_PAD src0_sel:WORD_0 src1_sel:DWORD
	v_lshrrev_b32_e32 v151, 21, v5
	v_mul_lo_u16_e32 v5, 33, v151
	v_sub_u16_e32 v152, v0, v5
	v_lshlrev_b32_e32 v5, 5, v152
	global_load_dwordx4 v[66:69], v5, s[12:13] offset:352
	global_load_dwordx4 v[70:73], v5, s[12:13] offset:368
	;; [unrolled: 7-line block ×4, first 2 shown]
	ds_read2_b64 v[106:109], v82 offset0:82 offset1:181
	ds_read2_b64 v[110:113], v80 offset1:99
	ds_read2_b64 v[114:117], v81 offset0:36 offset1:135
	ds_read2_b64 v[118:121], v84 offset0:70 offset1:169
	;; [unrolled: 1-line block ×7, first 2 shown]
	s_waitcnt vmcnt(0) lgkmcnt(0)
	s_barrier
	v_mul_f64 v[78:79], v[106:107], v[44:45]
	v_mul_f64 v[44:45], v[10:11], v[44:45]
	;; [unrolled: 1-line block ×4, first 2 shown]
	v_fma_f64 v[10:11], v[10:11], v[42:43], -v[78:79]
	v_mul_f64 v[78:79], v[108:109], v[56:57]
	v_fma_f64 v[42:43], v[106:107], v[42:43], v[44:45]
	v_mul_f64 v[44:45], v[12:13], v[56:57]
	v_mul_f64 v[56:57], v[116:117], v[52:53]
	v_fma_f64 v[14:15], v[14:15], v[46:47], -v[142:143]
	v_fma_f64 v[46:47], v[114:115], v[46:47], v[48:49]
	v_mul_f64 v[48:49], v[16:17], v[52:53]
	v_mul_f64 v[52:53], v[122:123], v[60:61]
	v_fma_f64 v[12:13], v[12:13], v[54:55], -v[78:79]
	v_mul_f64 v[60:61], v[22:23], v[60:61]
	v_fma_f64 v[44:45], v[108:109], v[54:55], v[44:45]
	v_mul_f64 v[54:55], v[126:127], v[64:65]
	v_fma_f64 v[16:17], v[16:17], v[50:51], -v[56:57]
	v_mul_f64 v[56:57], v[26:27], v[64:65]
	v_fma_f64 v[48:49], v[116:117], v[50:51], v[48:49]
	;; [unrolled: 4-line block ×3, first 2 shown]
	v_fma_f64 v[26:27], v[26:27], v[62:63], -v[54:55]
	v_mul_f64 v[54:55], v[128:129], v[72:73]
	v_fma_f64 v[56:57], v[126:127], v[62:63], v[56:57]
	v_mul_f64 v[62:63], v[134:135], v[76:77]
	v_mul_f64 v[58:59], v[24:25], v[68:69]
	;; [unrolled: 1-line block ×3, first 2 shown]
	v_fma_f64 v[24:25], v[24:25], v[66:67], -v[50:51]
	v_mul_f64 v[50:51], v[34:35], v[76:77]
	v_mul_f64 v[68:69], v[140:141], v[104:105]
	v_fma_f64 v[28:29], v[28:29], v[70:71], -v[54:55]
	v_mul_f64 v[54:55], v[38:39], v[96:97]
	v_fma_f64 v[34:35], v[34:35], v[74:75], -v[62:63]
	;; [unrolled: 2-line block ×3, first 2 shown]
	v_add_f64 v[64:65], v[10:11], v[14:15]
	v_fma_f64 v[58:59], v[124:125], v[66:67], v[58:59]
	v_fma_f64 v[60:61], v[128:129], v[70:71], v[60:61]
	v_mul_f64 v[66:67], v[36:37], v[100:101]
	v_mul_f64 v[70:71], v[40:41], v[104:105]
	v_add_f64 v[72:73], v[42:43], v[46:47]
	v_fma_f64 v[36:37], v[36:37], v[98:99], -v[62:63]
	v_add_f64 v[62:63], v[6:7], v[10:11]
	v_fma_f64 v[5:6], v[64:65], -0.5, v[6:7]
	v_add_f64 v[64:65], v[42:43], -v[46:47]
	v_fma_f64 v[40:41], v[40:41], v[102:103], -v[68:69]
	v_add_f64 v[42:43], v[110:111], v[42:43]
	v_fma_f64 v[68:69], v[140:141], v[102:103], v[70:71]
	v_add_f64 v[70:71], v[12:13], v[16:17]
	v_fma_f64 v[72:73], v[72:73], -0.5, v[110:111]
	v_add_f64 v[62:63], v[62:63], v[14:15]
	v_add_f64 v[10:11], v[10:11], -v[14:15]
	v_fma_f64 v[14:15], v[64:65], s[6:7], v[5:6]
	v_fma_f64 v[5:6], v[64:65], s[8:9], v[5:6]
	v_add_f64 v[64:65], v[8:9], v[12:13]
	v_fma_f64 v[50:51], v[134:135], v[74:75], v[50:51]
	v_add_f64 v[46:47], v[42:43], v[46:47]
	v_add_f64 v[42:43], v[44:45], v[48:49]
	v_fma_f64 v[7:8], v[70:71], -0.5, v[8:9]
	v_add_f64 v[70:71], v[44:45], -v[48:49]
	v_fma_f64 v[74:75], v[10:11], s[8:9], v[72:73]
	v_fma_f64 v[72:73], v[10:11], s[6:7], v[72:73]
	v_add_f64 v[9:10], v[112:113], v[44:45]
	v_add_f64 v[44:45], v[64:65], v[16:17]
	;; [unrolled: 1-line block ×3, first 2 shown]
	v_add_f64 v[11:12], v[12:13], -v[16:17]
	v_fma_f64 v[42:43], v[42:43], -0.5, v[112:113]
	v_fma_f64 v[16:17], v[70:71], s[6:7], v[7:8]
	v_fma_f64 v[7:8], v[70:71], s[8:9], v[7:8]
	v_add_f64 v[70:71], v[18:19], v[22:23]
	v_add_f64 v[48:49], v[9:10], v[48:49]
	;; [unrolled: 1-line block ×3, first 2 shown]
	v_fma_f64 v[18:19], v[64:65], -0.5, v[18:19]
	v_add_f64 v[64:65], v[52:53], -v[56:57]
	v_add_f64 v[52:53], v[118:119], v[52:53]
	v_add_f64 v[22:23], v[22:23], -v[26:27]
	v_fma_f64 v[76:77], v[11:12], s[8:9], v[42:43]
	v_fma_f64 v[78:79], v[11:12], s[6:7], v[42:43]
	v_add_f64 v[42:43], v[24:25], v[28:29]
	v_fma_f64 v[9:10], v[9:10], -0.5, v[118:119]
	v_fma_f64 v[54:55], v[138:139], v[94:95], v[54:55]
	v_add_f64 v[11:12], v[70:71], v[26:27]
	v_add_f64 v[52:53], v[52:53], v[56:57]
	;; [unrolled: 1-line block ×3, first 2 shown]
	v_fma_f64 v[26:27], v[64:65], s[6:7], v[18:19]
	v_fma_f64 v[18:19], v[64:65], s[8:9], v[18:19]
	v_add_f64 v[64:65], v[20:21], v[24:25]
	v_fma_f64 v[70:71], v[22:23], s[8:9], v[9:10]
	v_add_f64 v[94:95], v[34:35], v[38:39]
	;; [unrolled: 2-line block ×3, first 2 shown]
	v_fma_f64 v[22:23], v[56:57], -0.5, v[120:121]
	v_add_f64 v[24:25], v[24:25], -v[28:29]
	v_fma_f64 v[66:67], v[136:137], v[98:99], v[66:67]
	v_fma_f64 v[20:21], v[42:43], -0.5, v[20:21]
	v_add_f64 v[42:43], v[58:59], -v[60:61]
	v_add_f64 v[58:59], v[30:31], v[34:35]
	v_fma_f64 v[30:31], v[94:95], -0.5, v[30:31]
	v_add_f64 v[60:61], v[9:10], v[60:61]
	v_add_f64 v[9:10], v[50:51], v[54:55]
	v_fma_f64 v[94:95], v[24:25], s[8:9], v[22:23]
	v_fma_f64 v[98:99], v[24:25], s[6:7], v[22:23]
	v_add_f64 v[24:25], v[36:37], v[40:41]
	v_add_f64 v[28:29], v[64:65], v[28:29]
	;; [unrolled: 1-line block ×4, first 2 shown]
	v_add_f64 v[64:65], v[50:51], -v[54:55]
	v_add_f64 v[50:51], v[130:131], v[50:51]
	v_fma_f64 v[9:10], v[9:10], -0.5, v[130:131]
	v_add_f64 v[34:35], v[34:35], -v[38:39]
	v_add_f64 v[38:39], v[32:33], v[36:37]
	v_fma_f64 v[24:25], v[24:25], -0.5, v[32:33]
	v_add_f64 v[32:33], v[66:67], -v[68:69]
	v_fma_f64 v[58:59], v[58:59], -0.5, v[132:133]
	v_add_f64 v[36:37], v[36:37], -v[40:41]
	v_fma_f64 v[56:57], v[42:43], s[6:7], v[20:21]
	v_fma_f64 v[20:21], v[42:43], s[8:9], v[20:21]
	v_add_f64 v[50:51], v[50:51], v[54:55]
	v_fma_f64 v[54:55], v[34:35], s[8:9], v[9:10]
	v_fma_f64 v[34:35], v[34:35], s[6:7], v[9:10]
	v_add_f64 v[9:10], v[38:39], v[40:41]
	v_fma_f64 v[38:39], v[32:33], s[6:7], v[24:25]
	v_fma_f64 v[24:25], v[32:33], s[8:9], v[24:25]
	v_mul_u32_u24_e32 v13, 0x318, v145
	v_lshlrev_b32_sdwa v32, v144, v146 dst_sel:DWORD dst_unused:UNUSED_PAD src0_sel:DWORD src1_sel:BYTE_0
	v_fma_f64 v[42:43], v[64:65], s[6:7], v[30:31]
	v_fma_f64 v[30:31], v[64:65], s[8:9], v[30:31]
	v_add_f64 v[64:65], v[132:133], v[66:67]
	v_fma_f64 v[66:67], v[36:37], s[8:9], v[58:59]
	v_fma_f64 v[36:37], v[36:37], s[6:7], v[58:59]
	v_add3_u32 v58, 0, v13, v32
	ds_write2_b64 v58, v[62:63], v[14:15] offset1:33
	ds_write_b64 v58, v[5:6] offset:528
	v_mul_u32_u24_e32 v5, 0x318, v147
	v_lshlrev_b32_sdwa v6, v144, v148 dst_sel:DWORD dst_unused:UNUSED_PAD src0_sel:DWORD src1_sel:BYTE_0
	v_add3_u32 v5, 0, v5, v6
	ds_write2_b64 v5, v[44:45], v[16:17] offset1:33
	ds_write_b64 v5, v[7:8] offset:528
	v_mul_u32_u24_e32 v6, 0x318, v149
	v_lshlrev_b32_e32 v7, 3, v150
	v_add3_u32 v59, 0, v6, v7
	v_mul_u32_u24_e32 v6, 0x318, v151
	v_lshlrev_b32_e32 v7, 3, v152
	v_add3_u32 v62, 0, v6, v7
	v_mul_u32_u24_e32 v6, 0x318, v153
	v_lshlrev_b32_e32 v7, 3, v154
	ds_write2_b64 v59, v[11:12], v[26:27] offset1:33
	ds_write_b64 v59, v[18:19] offset:528
	ds_write2_b64 v62, v[28:29], v[56:57] offset1:33
	ds_write_b64 v62, v[20:21] offset:528
	v_add3_u32 v56, 0, v6, v7
	v_mul_u32_u24_e32 v6, 0x318, v155
	v_lshlrev_b32_e32 v7, 3, v156
	v_add3_u32 v57, 0, v6, v7
	v_add_f64 v[64:65], v[64:65], v[68:69]
	ds_write2_b64 v56, v[22:23], v[42:43] offset1:33
	ds_write_b64 v56, v[30:31] offset:528
	ds_write2_b64 v57, v[9:10], v[38:39] offset1:33
	ds_write_b64 v57, v[24:25] offset:528
	s_waitcnt lgkmcnt(0)
	s_barrier
	ds_read2_b64 v[6:9], v80 offset1:99
	ds_read2_b64 v[10:13], v82 offset0:82 offset1:181
	ds_read2_b64 v[14:17], v81 offset0:36 offset1:135
	;; [unrolled: 1-line block ×8, first 2 shown]
	s_waitcnt lgkmcnt(0)
	s_barrier
	ds_write2_b64 v58, v[46:47], v[74:75] offset1:33
	ds_write_b64 v58, v[72:73] offset:528
	ds_write2_b64 v5, v[48:49], v[76:77] offset1:33
	ds_write_b64 v5, v[78:79] offset:528
	;; [unrolled: 2-line block ×6, first 2 shown]
	v_lshlrev_b32_e32 v36, 1, v88
	v_mov_b32_e32 v37, 0
	v_lshlrev_b64 v[34:35], 4, v[36:37]
	v_mov_b32_e32 v5, s13
	v_add_co_u32_e64 v34, s[0:1], s12, v34
	v_addc_co_u32_e64 v35, s[0:1], v5, v35, s[0:1]
	s_waitcnt lgkmcnt(0)
	s_barrier
	global_load_dwordx4 v[46:49], v[34:35], off offset:1408
	global_load_dwordx4 v[50:53], v[34:35], off offset:1424
	s_mov_b32 s0, 0xa57f
	v_mul_u32_u24_sdwa v36, v3, s0 dst_sel:DWORD dst_unused:UNUSED_PAD src0_sel:WORD_0 src1_sel:DWORD
	v_lshrrev_b32_e32 v36, 22, v36
	v_mul_lo_u16_e32 v36, 0x63, v36
	v_sub_u16_e32 v36, v3, v36
	v_lshlrev_b32_e32 v62, 5, v36
	global_load_dwordx4 v[54:57], v62, s[12:13] offset:1408
	global_load_dwordx4 v[58:61], v62, s[12:13] offset:1424
	v_mul_u32_u24_sdwa v62, v0, s0 dst_sel:DWORD dst_unused:UNUSED_PAD src0_sel:WORD_0 src1_sel:DWORD
	v_lshrrev_b32_e32 v62, 22, v62
	v_mul_lo_u16_e32 v62, 0x63, v62
	v_sub_u16_e32 v144, v0, v62
	v_lshlrev_b32_e32 v70, 5, v144
	global_load_dwordx4 v[62:65], v70, s[12:13] offset:1408
	global_load_dwordx4 v[66:69], v70, s[12:13] offset:1424
	;; [unrolled: 7-line block ×4, first 2 shown]
	ds_read2_b64 v[102:105], v82 offset0:82 offset1:181
	ds_read2_b64 v[106:109], v80 offset1:99
	ds_read2_b64 v[110:113], v81 offset0:36 offset1:135
	ds_read2_b64 v[114:117], v84 offset0:70 offset1:169
	;; [unrolled: 1-line block ×7, first 2 shown]
	s_waitcnt vmcnt(0) lgkmcnt(0)
	s_barrier
	v_lshl_add_u32 v36, v36, 3, 0
	v_mul_f64 v[78:79], v[102:103], v[48:49]
	v_mul_f64 v[138:139], v[10:11], v[48:49]
	;; [unrolled: 1-line block ×4, first 2 shown]
	v_fma_f64 v[10:11], v[10:11], v[46:47], -v[78:79]
	v_mul_f64 v[78:79], v[104:105], v[48:49]
	v_fma_f64 v[102:103], v[102:103], v[46:47], v[138:139]
	v_mul_f64 v[48:49], v[12:13], v[48:49]
	v_fma_f64 v[14:15], v[14:15], v[50:51], -v[140:141]
	v_mul_f64 v[138:139], v[112:113], v[52:53]
	v_mul_f64 v[52:53], v[16:17], v[52:53]
	;; [unrolled: 1-line block ×4, first 2 shown]
	v_fma_f64 v[110:111], v[110:111], v[50:51], v[142:143]
	v_fma_f64 v[12:13], v[12:13], v[46:47], -v[78:79]
	v_fma_f64 v[46:47], v[104:105], v[46:47], v[48:49]
	v_mul_f64 v[48:49], v[122:123], v[60:61]
	v_fma_f64 v[16:17], v[16:17], v[50:51], -v[138:139]
	v_fma_f64 v[50:51], v[112:113], v[50:51], v[52:53]
	v_fma_f64 v[22:23], v[22:23], v[54:55], -v[140:141]
	v_mul_f64 v[52:53], v[120:121], v[64:65]
	v_fma_f64 v[54:55], v[118:119], v[54:55], v[56:57]
	v_mul_f64 v[56:57], v[24:25], v[64:65]
	v_mul_f64 v[60:61], v[26:27], v[60:61]
	v_fma_f64 v[26:27], v[26:27], v[58:59], -v[48:49]
	v_mul_f64 v[48:49], v[124:125], v[68:69]
	v_mul_f64 v[64:65], v[130:131], v[72:73]
	v_fma_f64 v[24:25], v[24:25], v[62:63], -v[52:53]
	v_mul_f64 v[52:53], v[38:39], v[72:73]
	v_fma_f64 v[56:57], v[120:121], v[62:63], v[56:57]
	v_mul_f64 v[62:63], v[134:135], v[76:77]
	v_fma_f64 v[58:59], v[122:123], v[58:59], v[60:61]
	v_mul_f64 v[60:61], v[28:29], v[68:69]
	v_fma_f64 v[28:29], v[28:29], v[66:67], -v[48:49]
	v_mul_f64 v[48:49], v[42:43], v[76:77]
	v_fma_f64 v[38:39], v[38:39], v[70:71], -v[64:65]
	v_mul_f64 v[64:65], v[132:133], v[96:97]
	v_add_f64 v[72:73], v[102:103], v[110:111]
	v_fma_f64 v[42:43], v[42:43], v[74:75], -v[62:63]
	v_add_f64 v[62:63], v[10:11], v[14:15]
	v_fma_f64 v[60:61], v[124:125], v[66:67], v[60:61]
	v_mul_f64 v[66:67], v[40:41], v[96:97]
	v_fma_f64 v[48:49], v[134:135], v[74:75], v[48:49]
	v_add_f64 v[74:75], v[12:13], v[16:17]
	v_fma_f64 v[40:41], v[40:41], v[94:95], -v[64:65]
	v_add_f64 v[64:65], v[6:7], v[10:11]
	v_fma_f64 v[72:73], v[72:73], -0.5, v[106:107]
	v_fma_f64 v[6:7], v[62:63], -0.5, v[6:7]
	v_add_f64 v[62:63], v[102:103], -v[110:111]
	v_add_f64 v[10:11], v[10:11], -v[14:15]
	v_add_f64 v[76:77], v[46:47], v[50:51]
	v_fma_f64 v[52:53], v[130:131], v[70:71], v[52:53]
	v_mul_f64 v[68:69], v[136:137], v[100:101]
	v_add_f64 v[64:65], v[64:65], v[14:15]
	v_mul_f64 v[70:71], v[44:45], v[100:101]
	v_fma_f64 v[66:67], v[132:133], v[94:95], v[66:67]
	v_fma_f64 v[14:15], v[62:63], s[6:7], v[6:7]
	;; [unrolled: 1-line block ×3, first 2 shown]
	v_add_f64 v[62:63], v[8:9], v[12:13]
	v_fma_f64 v[8:9], v[74:75], -0.5, v[8:9]
	v_add_f64 v[74:75], v[46:47], -v[50:51]
	v_fma_f64 v[78:79], v[10:11], s[8:9], v[72:73]
	v_fma_f64 v[72:73], v[10:11], s[6:7], v[72:73]
	v_add_f64 v[10:11], v[108:109], v[46:47]
	v_fma_f64 v[76:77], v[76:77], -0.5, v[108:109]
	v_add_f64 v[12:13], v[12:13], -v[16:17]
	v_add_f64 v[46:47], v[62:63], v[16:17]
	v_add_f64 v[62:63], v[22:23], v[26:27]
	v_fma_f64 v[16:17], v[74:75], s[6:7], v[8:9]
	v_fma_f64 v[8:9], v[74:75], s[8:9], v[8:9]
	v_add_f64 v[74:75], v[18:19], v[22:23]
	v_add_f64 v[50:51], v[10:11], v[50:51]
	;; [unrolled: 1-line block ×3, first 2 shown]
	v_fma_f64 v[94:95], v[12:13], s[8:9], v[76:77]
	v_fma_f64 v[76:77], v[12:13], s[6:7], v[76:77]
	v_fma_f64 v[18:19], v[62:63], -0.5, v[18:19]
	v_add_f64 v[62:63], v[54:55], -v[58:59]
	v_add_f64 v[54:55], v[114:115], v[54:55]
	v_add_f64 v[12:13], v[74:75], v[26:27]
	;; [unrolled: 1-line block ×3, first 2 shown]
	v_fma_f64 v[10:11], v[10:11], -0.5, v[114:115]
	v_add_f64 v[22:23], v[22:23], -v[26:27]
	v_fma_f64 v[44:45], v[44:45], v[98:99], -v[68:69]
	v_fma_f64 v[68:69], v[136:137], v[98:99], v[70:71]
	v_fma_f64 v[26:27], v[62:63], s[6:7], v[18:19]
	v_add_f64 v[54:55], v[54:55], v[58:59]
	v_add_f64 v[58:59], v[56:57], v[60:61]
	v_fma_f64 v[18:19], v[62:63], s[8:9], v[18:19]
	v_add_f64 v[62:63], v[20:21], v[24:25]
	v_fma_f64 v[20:21], v[74:75], -0.5, v[20:21]
	v_add_f64 v[74:75], v[56:57], -v[60:61]
	v_fma_f64 v[96:97], v[22:23], s[8:9], v[10:11]
	v_add_f64 v[98:99], v[38:39], v[42:43]
	v_fma_f64 v[100:101], v[22:23], s[6:7], v[10:11]
	v_add_f64 v[10:11], v[116:117], v[56:57]
	v_fma_f64 v[22:23], v[58:59], -0.5, v[116:117]
	v_add_f64 v[24:25], v[24:25], -v[28:29]
	v_add_f64 v[28:29], v[62:63], v[28:29]
	v_fma_f64 v[56:57], v[74:75], s[6:7], v[20:21]
	v_add_f64 v[58:59], v[30:31], v[38:39]
	v_fma_f64 v[30:31], v[98:99], -0.5, v[30:31]
	v_add_f64 v[62:63], v[52:53], -v[48:49]
	v_fma_f64 v[20:21], v[74:75], s[8:9], v[20:21]
	v_add_f64 v[60:61], v[10:11], v[60:61]
	v_fma_f64 v[74:75], v[24:25], s[8:9], v[22:23]
	v_add_f64 v[10:11], v[52:53], v[48:49]
	;; [unrolled: 2-line block ×3, first 2 shown]
	v_add_f64 v[70:71], v[106:107], v[102:103]
	v_add_f64 v[22:23], v[58:59], v[42:43]
	v_fma_f64 v[58:59], v[62:63], s[6:7], v[30:31]
	v_fma_f64 v[30:31], v[62:63], s[8:9], v[30:31]
	v_add_f64 v[62:63], v[66:67], v[68:69]
	v_add_f64 v[52:53], v[126:127], v[52:53]
	v_fma_f64 v[10:11], v[10:11], -0.5, v[126:127]
	v_add_f64 v[38:39], v[38:39], -v[42:43]
	v_add_f64 v[42:43], v[32:33], v[40:41]
	v_fma_f64 v[24:25], v[24:25], -0.5, v[32:33]
	v_add_f64 v[32:33], v[66:67], -v[68:69]
	v_add_f64 v[70:71], v[70:71], v[110:111]
	v_add_f64 v[66:67], v[128:129], v[66:67]
	v_fma_f64 v[62:63], v[62:63], -0.5, v[128:129]
	v_add_f64 v[40:41], v[40:41], -v[44:45]
	v_add_f64 v[48:49], v[52:53], v[48:49]
	v_fma_f64 v[52:53], v[38:39], s[8:9], v[10:11]
	v_fma_f64 v[102:103], v[38:39], s[6:7], v[10:11]
	v_add_f64 v[10:11], v[42:43], v[44:45]
	v_fma_f64 v[38:39], v[32:33], s[6:7], v[24:25]
	v_fma_f64 v[24:25], v[32:33], s[8:9], v[24:25]
	ds_write2_b64 v80, v[64:65], v[14:15] offset1:99
	ds_write2_b64 v84, v[6:7], v[46:47] offset0:70 offset1:169
	ds_write2_b64 v89, v[16:17], v[8:9] offset0:140 offset1:239
	v_lshl_add_u32 v47, v144, 3, 0
	v_add_u32_e32 v46, 0x1000, v36
	v_add_u32_e32 v64, 0x1800, v47
	ds_write2_b64 v46, v[12:13], v[26:27] offset0:82 offset1:181
	ds_write_b64 v36, v[18:19] offset:6336
	ds_write2_b64 v64, v[28:29], v[56:57] offset0:123 offset1:222
	ds_write_b64 v47, v[20:21] offset:8712
	v_lshl_add_u32 v56, v145, 3, 0
	v_add_u32_e32 v57, 0x2400, v56
	ds_write2_b64 v57, v[22:23], v[58:59] offset0:36 offset1:135
	ds_write_b64 v56, v[30:31] offset:11088
	v_lshl_add_u32 v58, v146, 3, 0
	v_add_u32_e32 v59, 0x2c00, v58
	v_add_f64 v[66:67], v[66:67], v[68:69]
	v_fma_f64 v[68:69], v[40:41], s[8:9], v[62:63]
	v_fma_f64 v[62:63], v[40:41], s[6:7], v[62:63]
	ds_write2_b64 v59, v[10:11], v[38:39] offset0:77 offset1:176
	ds_write_b64 v58, v[24:25] offset:13464
	s_waitcnt lgkmcnt(0)
	s_barrier
	ds_read2_b64 v[6:9], v80 offset1:99
	ds_read2_b64 v[10:13], v82 offset0:82 offset1:181
	ds_read2_b64 v[14:17], v81 offset0:36 offset1:135
	;; [unrolled: 1-line block ×8, first 2 shown]
	s_waitcnt lgkmcnt(0)
	s_barrier
	ds_write2_b64 v80, v[70:71], v[78:79] offset1:99
	ds_write2_b64 v84, v[72:73], v[50:51] offset0:70 offset1:169
	ds_write2_b64 v89, v[94:95], v[76:77] offset0:140 offset1:239
	;; [unrolled: 1-line block ×3, first 2 shown]
	ds_write_b64 v36, v[100:101] offset:6336
	ds_write2_b64 v64, v[60:61], v[74:75] offset0:123 offset1:222
	ds_write_b64 v47, v[98:99] offset:8712
	ds_write2_b64 v57, v[48:49], v[52:53] offset0:36 offset1:135
	;; [unrolled: 2-line block ×3, first 2 shown]
	ds_write_b64 v58, v[62:63] offset:13464
	v_add_co_u32_e64 v50, s[0:1], s14, v34
	v_addc_co_u32_e64 v51, s[0:1], 0, v35, s[0:1]
	v_add_co_u32_e64 v34, s[0:1], s33, v34
	v_addc_co_u32_e64 v35, s[0:1], 0, v35, s[0:1]
	v_lshlrev_b32_e32 v36, 1, v4
	s_waitcnt lgkmcnt(0)
	s_barrier
	global_load_dwordx4 v[46:49], v[34:35], off offset:480
	s_nop 0
	global_load_dwordx4 v[50:53], v[50:51], off offset:16
	v_lshlrev_b64 v[34:35], 4, v[36:37]
	v_add_co_u32_e64 v4, s[0:1], s12, v34
	v_addc_co_u32_e64 v36, s[0:1], v5, v35, s[0:1]
	v_add_co_u32_e64 v34, s[0:1], s14, v4
	v_addc_co_u32_e64 v35, s[0:1], 0, v36, s[0:1]
	;; [unrolled: 2-line block ×3, first 2 shown]
	v_lshlrev_b32_e32 v36, 1, v3
	v_lshlrev_b64 v[3:4], 4, v[36:37]
	global_load_dwordx4 v[54:57], v[62:63], off offset:480
	global_load_dwordx4 v[58:61], v[34:35], off offset:16
	v_add_co_u32_e64 v34, s[0:1], s12, v3
	v_addc_co_u32_e64 v5, s[0:1], v5, v4, s[0:1]
	v_add_co_u32_e64 v3, s[0:1], s33, v34
	v_addc_co_u32_e64 v4, s[0:1], 0, v5, s[0:1]
	global_load_dwordx4 v[62:65], v[3:4], off offset:480
	v_add_co_u32_e64 v3, s[0:1], s14, v34
	v_addc_co_u32_e64 v4, s[0:1], 0, v5, s[0:1]
	global_load_dwordx4 v[66:69], v[3:4], off offset:16
	ds_read2_b64 v[70:73], v82 offset0:82 offset1:181
	ds_read2_b64 v[74:77], v80 offset1:99
	ds_read2_b64 v[94:97], v81 offset0:36 offset1:135
	ds_read2_b64 v[98:101], v84 offset0:70 offset1:169
	;; [unrolled: 1-line block ×7, first 2 shown]
	s_waitcnt vmcnt(0) lgkmcnt(0)
	s_barrier
	v_mul_f64 v[3:4], v[70:71], v[48:49]
	v_mul_f64 v[34:35], v[10:11], v[48:49]
	v_mul_f64 v[78:79], v[94:95], v[52:53]
	v_mul_f64 v[122:123], v[14:15], v[52:53]
	v_fma_f64 v[3:4], v[10:11], v[46:47], -v[3:4]
	v_fma_f64 v[34:35], v[70:71], v[46:47], v[34:35]
	v_fma_f64 v[14:15], v[14:15], v[50:51], -v[78:79]
	v_fma_f64 v[94:95], v[94:95], v[50:51], v[122:123]
	v_mul_f64 v[10:11], v[72:73], v[56:57]
	v_mul_f64 v[70:71], v[12:13], v[56:57]
	;; [unrolled: 1-line block ×4, first 2 shown]
	v_fma_f64 v[10:11], v[12:13], v[54:55], -v[10:11]
	v_fma_f64 v[70:71], v[72:73], v[54:55], v[70:71]
	v_mul_f64 v[12:13], v[22:23], v[64:65]
	v_mul_f64 v[124:125], v[102:103], v[64:65]
	v_fma_f64 v[16:17], v[16:17], v[58:59], -v[78:79]
	v_fma_f64 v[96:97], v[96:97], v[58:59], v[122:123]
	v_mul_f64 v[122:123], v[104:105], v[48:49]
	v_mul_f64 v[72:73], v[106:107], v[68:69]
	;; [unrolled: 1-line block ×4, first 2 shown]
	v_fma_f64 v[12:13], v[102:103], v[62:63], v[12:13]
	v_mul_f64 v[102:103], v[114:115], v[56:57]
	v_mul_f64 v[56:57], v[38:39], v[56:57]
	v_fma_f64 v[22:23], v[22:23], v[62:63], -v[124:125]
	v_fma_f64 v[24:25], v[24:25], v[46:47], -v[122:123]
	;; [unrolled: 1-line block ×3, first 2 shown]
	v_mul_f64 v[72:73], v[108:109], v[52:53]
	v_mul_f64 v[52:53], v[28:29], v[52:53]
	v_fma_f64 v[46:47], v[104:105], v[46:47], v[48:49]
	v_fma_f64 v[38:39], v[38:39], v[54:55], -v[102:103]
	v_fma_f64 v[54:55], v[114:115], v[54:55], v[56:57]
	v_mul_f64 v[56:57], v[40:41], v[64:65]
	v_mul_f64 v[48:49], v[118:119], v[60:61]
	;; [unrolled: 1-line block ×3, first 2 shown]
	v_fma_f64 v[28:29], v[28:29], v[50:51], -v[72:73]
	v_fma_f64 v[50:51], v[108:109], v[50:51], v[52:53]
	v_mul_f64 v[52:53], v[116:117], v[64:65]
	v_mul_f64 v[64:65], v[44:45], v[68:69]
	v_fma_f64 v[78:79], v[106:107], v[66:67], v[78:79]
	v_fma_f64 v[56:57], v[116:117], v[62:63], v[56:57]
	v_fma_f64 v[42:43], v[42:43], v[58:59], -v[48:49]
	v_add_f64 v[48:49], v[3:4], v[14:15]
	v_fma_f64 v[58:59], v[118:119], v[58:59], v[60:61]
	v_mul_f64 v[60:61], v[120:121], v[68:69]
	v_fma_f64 v[40:41], v[40:41], v[62:63], -v[52:53]
	v_add_f64 v[62:63], v[34:35], v[94:95]
	v_add_f64 v[52:53], v[6:7], v[3:4]
	v_add_f64 v[3:4], v[3:4], -v[14:15]
	v_fma_f64 v[5:6], v[48:49], -0.5, v[6:7]
	v_add_f64 v[48:49], v[34:35], -v[94:95]
	v_fma_f64 v[44:45], v[44:45], v[66:67], -v[60:61]
	v_fma_f64 v[60:61], v[120:121], v[66:67], v[64:65]
	v_fma_f64 v[62:63], v[62:63], -0.5, v[74:75]
	v_add_f64 v[34:35], v[74:75], v[34:35]
	v_add_f64 v[64:65], v[10:11], v[16:17]
	;; [unrolled: 1-line block ×3, first 2 shown]
	v_fma_f64 v[14:15], v[48:49], s[6:7], v[5:6]
	v_fma_f64 v[5:6], v[48:49], s[8:9], v[5:6]
	v_add_f64 v[48:49], v[8:9], v[10:11]
	v_fma_f64 v[68:69], v[3:4], s[8:9], v[62:63]
	v_fma_f64 v[62:63], v[3:4], s[6:7], v[62:63]
	v_add_f64 v[3:4], v[76:77], v[70:71]
	v_add_f64 v[66:67], v[34:35], v[94:95]
	;; [unrolled: 1-line block ×3, first 2 shown]
	v_fma_f64 v[7:8], v[64:65], -0.5, v[8:9]
	v_add_f64 v[64:65], v[70:71], -v[96:97]
	v_add_f64 v[70:71], v[22:23], v[26:27]
	v_add_f64 v[48:49], v[48:49], v[16:17]
	v_add_f64 v[9:10], v[10:11], -v[16:17]
	v_add_f64 v[72:73], v[3:4], v[96:97]
	v_add_f64 v[3:4], v[12:13], v[78:79]
	v_fma_f64 v[34:35], v[34:35], -0.5, v[76:77]
	v_add_f64 v[94:95], v[38:39], v[42:43]
	v_fma_f64 v[16:17], v[64:65], s[6:7], v[7:8]
	v_fma_f64 v[7:8], v[64:65], s[8:9], v[7:8]
	v_add_f64 v[64:65], v[18:19], v[22:23]
	v_fma_f64 v[18:19], v[70:71], -0.5, v[18:19]
	v_add_f64 v[70:71], v[12:13], -v[78:79]
	v_add_f64 v[11:12], v[98:99], v[12:13]
	v_fma_f64 v[3:4], v[3:4], -0.5, v[98:99]
	v_add_f64 v[22:23], v[22:23], -v[26:27]
	v_fma_f64 v[74:75], v[9:10], s[8:9], v[34:35]
	v_fma_f64 v[76:77], v[9:10], s[6:7], v[34:35]
	v_add_f64 v[9:10], v[64:65], v[26:27]
	v_add_f64 v[34:35], v[24:25], v[28:29]
	v_fma_f64 v[26:27], v[70:71], s[6:7], v[18:19]
	v_add_f64 v[64:65], v[11:12], v[78:79]
	v_add_f64 v[11:12], v[46:47], v[50:51]
	v_fma_f64 v[78:79], v[22:23], s[8:9], v[3:4]
	v_fma_f64 v[96:97], v[22:23], s[6:7], v[3:4]
	v_add_f64 v[3:4], v[100:101], v[46:47]
	v_add_f64 v[22:23], v[24:25], -v[28:29]
	v_fma_f64 v[18:19], v[70:71], s[8:9], v[18:19]
	v_add_f64 v[70:71], v[20:21], v[24:25]
	v_fma_f64 v[20:21], v[34:35], -0.5, v[20:21]
	v_fma_f64 v[11:12], v[11:12], -0.5, v[100:101]
	v_add_f64 v[34:35], v[46:47], -v[50:51]
	v_add_f64 v[46:47], v[30:31], v[38:39]
	v_add_f64 v[50:51], v[3:4], v[50:51]
	v_add_f64 v[3:4], v[54:55], v[58:59]
	v_fma_f64 v[30:31], v[94:95], -0.5, v[30:31]
	v_add_f64 v[24:25], v[70:71], v[28:29]
	v_add_f64 v[70:71], v[54:55], -v[58:59]
	v_fma_f64 v[94:95], v[22:23], s[8:9], v[11:12]
	v_fma_f64 v[98:99], v[22:23], s[6:7], v[11:12]
	v_add_f64 v[22:23], v[40:41], v[44:45]
	v_add_f64 v[11:12], v[46:47], v[42:43]
	;; [unrolled: 1-line block ×4, first 2 shown]
	v_fma_f64 v[3:4], v[3:4], -0.5, v[110:111]
	v_add_f64 v[38:39], v[38:39], -v[42:43]
	v_add_f64 v[42:43], v[32:33], v[40:41]
	v_add_f64 v[40:41], v[40:41], -v[44:45]
	v_fma_f64 v[22:23], v[22:23], -0.5, v[32:33]
	v_add_f64 v[32:33], v[56:57], -v[60:61]
	v_add_f64 v[56:57], v[112:113], v[56:57]
	v_fma_f64 v[46:47], v[46:47], -0.5, v[112:113]
	v_fma_f64 v[28:29], v[34:35], s[6:7], v[20:21]
	v_fma_f64 v[20:21], v[34:35], s[8:9], v[20:21]
	v_fma_f64 v[34:35], v[70:71], s[6:7], v[30:31]
	v_fma_f64 v[30:31], v[70:71], s[8:9], v[30:31]
	v_add_f64 v[54:55], v[54:55], v[58:59]
	v_fma_f64 v[58:59], v[38:39], s[8:9], v[3:4]
	v_fma_f64 v[70:71], v[38:39], s[6:7], v[3:4]
	v_add_f64 v[3:4], v[42:43], v[44:45]
	v_fma_f64 v[38:39], v[32:33], s[6:7], v[22:23]
	v_fma_f64 v[22:23], v[32:33], s[8:9], v[22:23]
	ds_write2_b64 v80, v[52:53], v[48:49] offset1:99
	ds_write2_b64 v82, v[5:6], v[7:8] offset0:82 offset1:181
	ds_write2_b64 v84, v[9:10], v[14:15] offset0:70 offset1:169
	;; [unrolled: 1-line block ×8, first 2 shown]
	v_lshl_add_u32 v3, v88, 3, 0
	v_add_u32_e32 v42, 0x2000, v80
	v_add_u32_e32 v44, 0x2c00, v80
	v_add_u32_e32 v43, 0x1400, v3
	v_add_f64 v[56:57], v[56:57], v[60:61]
	v_fma_f64 v[60:61], v[40:41], s[8:9], v[46:47]
	v_fma_f64 v[45:46], v[40:41], s[6:7], v[46:47]
	s_waitcnt lgkmcnt(0)
	s_barrier
	ds_read2_b64 v[4:7], v80 offset1:99
	ds_read2_b64 v[12:15], v85 offset0:123 offset1:222
	ds_read2_b64 v[8:11], v84 offset0:70 offset1:169
	;; [unrolled: 1-line block ×7, first 2 shown]
	ds_read_b64 v[38:39], v80 offset:4752
	ds_read_b64 v[40:41], v80 offset:13464
	s_waitcnt lgkmcnt(0)
	s_barrier
	ds_write2_b64 v80, v[66:67], v[72:73] offset1:99
	ds_write2_b64 v82, v[62:63], v[76:77] offset0:82 offset1:181
	ds_write2_b64 v84, v[64:65], v[68:69] offset0:70 offset1:169
	;; [unrolled: 1-line block ×8, first 2 shown]
	s_waitcnt lgkmcnt(0)
	s_barrier
	s_and_saveexec_b64 s[0:1], vcc
	s_cbranch_execz .LBB0_21
; %bb.20:
	v_add_u32_e32 v36, 0x318, v88
	v_lshlrev_b64 v[46:47], 4, v[36:37]
	v_mov_b32_e32 v36, s13
	v_add_co_u32_e32 v3, vcc, s12, v46
	v_addc_co_u32_e32 v46, vcc, v36, v47, vcc
	s_movk_i32 s0, 0x3000
	v_add_co_u32_e32 v54, vcc, s0, v3
	v_add_u32_e32 v45, 0x2b5, v88
	v_addc_co_u32_e32 v55, vcc, 0, v46, vcc
	v_mov_b32_e32 v46, v37
	v_lshlrev_b64 v[45:46], 4, v[45:46]
	v_add_u32_e32 v53, 0x252, v88
	v_add_co_u32_e32 v3, vcc, s12, v45
	v_addc_co_u32_e32 v45, vcc, v36, v46, vcc
	v_add_co_u32_e32 v56, vcc, s0, v3
	v_addc_co_u32_e32 v57, vcc, 0, v45, vcc
	global_load_dwordx4 v[45:48], v[54:55], off offset:1792
	global_load_dwordx4 v[49:52], v[56:57], off offset:1792
	v_mov_b32_e32 v54, v37
	v_lshlrev_b64 v[53:54], 4, v[53:54]
	v_mov_b32_e32 v89, v37
	v_add_co_u32_e32 v3, vcc, s12, v53
	v_addc_co_u32_e32 v54, vcc, v36, v54, vcc
	v_add_co_u32_e32 v53, vcc, s0, v3
	v_addc_co_u32_e32 v54, vcc, 0, v54, vcc
	global_load_dwordx4 v[53:56], v[53:54], off offset:1792
	v_mov_b32_e32 v3, v37
	v_lshlrev_b64 v[2:3], 4, v[2:3]
	s_movk_i32 s1, 0x4000
	v_add_co_u32_e32 v2, vcc, s12, v2
	v_addc_co_u32_e32 v3, vcc, v36, v3, vcc
	v_add_co_u32_e32 v2, vcc, s0, v2
	v_addc_co_u32_e32 v3, vcc, 0, v3, vcc
	global_load_dwordx4 v[57:60], v[2:3], off offset:1792
	v_mov_b32_e32 v2, v37
	v_lshlrev_b64 v[1:2], 4, v[1:2]
	v_mul_lo_u32 v87, s4, v93
	v_add_co_u32_e32 v1, vcc, s12, v1
	v_addc_co_u32_e32 v2, vcc, v36, v2, vcc
	v_add_co_u32_e32 v1, vcc, s0, v1
	v_addc_co_u32_e32 v2, vcc, 0, v2, vcc
	global_load_dwordx4 v[61:64], v[1:2], off offset:1792
	v_mov_b32_e32 v1, v37
	v_lshlrev_b64 v[0:1], 4, v[0:1]
	v_mul_lo_u32 v79, s5, v92
	v_add_co_u32_e32 v0, vcc, s12, v0
	v_addc_co_u32_e32 v1, vcc, v36, v1, vcc
	v_add_co_u32_e32 v0, vcc, s0, v0
	v_addc_co_u32_e32 v1, vcc, 0, v1, vcc
	global_load_dwordx4 v[65:68], v[0:1], off offset:1792
	v_lshlrev_b64 v[0:1], 4, v[88:89]
	v_add_co_u32_e32 v2, vcc, s12, v0
	v_addc_co_u32_e32 v3, vcc, v36, v1, vcc
	v_add_co_u32_e32 v0, vcc, s1, v2
	v_addc_co_u32_e32 v1, vcc, 0, v3, vcc
	global_load_dwordx4 v[69:72], v[0:1], off offset:864
	v_add_co_u32_e32 v0, vcc, s0, v2
	v_addc_co_u32_e32 v1, vcc, 0, v3, vcc
	global_load_dwordx4 v[73:76], v[0:1], off offset:3376
	global_load_dwordx4 v[81:84], v[0:1], off offset:1792
	ds_read_b64 v[36:37], v80 offset:13464
	ds_read_b64 v[77:78], v80 offset:4752
	ds_read2_b64 v[0:3], v44 offset0:77 offset1:176
	ds_read2_b64 v[93:96], v43 offset0:53 offset1:152
	v_add_u32_e32 v43, 0x2800, v80
	s_waitcnt vmcnt(8) lgkmcnt(3)
	v_mul_f64 v[85:86], v[45:46], v[36:37]
	v_mul_f64 v[36:37], v[47:48], v[36:37]
	s_waitcnt vmcnt(7) lgkmcnt(1)
	v_mul_f64 v[97:98], v[49:50], v[2:3]
	v_fma_f64 v[47:48], v[40:41], v[47:48], v[85:86]
	v_fma_f64 v[36:37], v[40:41], v[45:46], -v[36:37]
	v_fma_f64 v[40:41], v[34:35], v[51:52], v[97:98]
	v_mul_f64 v[51:52], v[51:52], v[2:3]
	ds_read2_b64 v[43:46], v43 offset0:7 offset1:106
	s_waitcnt vmcnt(6)
	v_mul_f64 v[97:98], v[55:56], v[0:1]
	v_mad_u64_u32 v[85:86], s[0:1], s4, v92, 0
	s_waitcnt lgkmcnt(1)
	v_add_f64 v[2:3], v[95:96], -v[47:48]
	v_mul_f64 v[47:48], v[53:54], v[0:1]
	v_add_f64 v[0:1], v[30:31], -v[36:37]
	v_fma_f64 v[34:35], v[34:35], v[49:50], -v[51:52]
	v_add_f64 v[36:37], v[93:94], -v[40:41]
	s_mov_b32 s0, 0x931b4b91
	v_add3_u32 v86, v86, v87, v79
	s_movk_i32 s1, 0x6f6
	v_fma_f64 v[49:50], v[95:96], 2.0, -v[2:3]
	v_fma_f64 v[51:52], v[32:33], v[55:56], v[47:48]
	s_waitcnt vmcnt(5) lgkmcnt(0)
	v_mul_f64 v[40:41], v[57:58], v[45:46]
	v_fma_f64 v[32:33], v[32:33], v[53:54], -v[97:98]
	v_fma_f64 v[47:48], v[30:31], 2.0, -v[0:1]
	v_fma_f64 v[30:31], v[93:94], 2.0, -v[36:37]
	ds_read2_b64 v[96:99], v42 offset0:65 offset1:164
	v_add_f64 v[34:35], v[28:29], -v[34:35]
	v_add_f64 v[53:54], v[77:78], -v[51:52]
	v_add_u32_e32 v51, 0x800, v80
	v_fma_f64 v[40:41], v[26:27], v[59:60], v[40:41]
	ds_read2_b64 v[92:95], v51 offset0:140 offset1:239
	v_add_f64 v[51:52], v[38:39], -v[32:33]
	v_mul_f64 v[32:33], v[59:60], v[45:46]
	s_waitcnt vmcnt(4)
	v_mul_f64 v[55:56], v[61:62], v[43:44]
	v_mul_f64 v[59:60], v[63:64], v[43:44]
	v_fma_f64 v[44:45], v[77:78], 2.0, -v[53:54]
	v_mul_hi_u32 v46, v88, s0
	s_waitcnt lgkmcnt(0)
	v_add_f64 v[40:41], v[94:95], -v[40:41]
	v_fma_f64 v[28:29], v[28:29], 2.0, -v[34:35]
	v_fma_f64 v[42:43], v[38:39], 2.0, -v[51:52]
	v_fma_f64 v[32:33], v[26:27], v[57:58], -v[32:33]
	v_fma_f64 v[63:64], v[24:25], v[63:64], v[55:56]
	v_fma_f64 v[24:25], v[24:25], v[61:62], -v[59:60]
	s_waitcnt vmcnt(3)
	v_mul_f64 v[100:101], v[65:66], v[98:99]
	v_add_u32_e32 v38, 0x400, v80
	v_fma_f64 v[26:27], v[94:95], 2.0, -v[40:41]
	v_mul_f64 v[94:95], v[67:68], v[98:99]
	ds_read2_b64 v[55:58], v38 offset0:70 offset1:169
	v_add_f64 v[38:39], v[22:23], -v[32:33]
	v_add_f64 v[61:62], v[92:93], -v[63:64]
	;; [unrolled: 1-line block ×3, first 2 shown]
	v_fma_f64 v[77:78], v[18:19], v[67:68], v[100:101]
	v_add_u32_e32 v24, 0x1800, v80
	ds_read2_b64 v[98:101], v24 offset0:123 offset1:222
	s_waitcnt vmcnt(2)
	v_mul_f64 v[32:33], v[69:70], v[96:97]
	v_fma_f64 v[18:19], v[18:19], v[65:66], -v[94:95]
	v_mul_f64 v[63:64], v[71:72], v[96:97]
	v_fma_f64 v[24:25], v[22:23], 2.0, -v[38:39]
	v_fma_f64 v[22:23], v[92:93], 2.0, -v[61:62]
	s_waitcnt lgkmcnt(1)
	v_add_f64 v[67:68], v[57:58], -v[77:78]
	s_waitcnt vmcnt(1) lgkmcnt(0)
	v_mul_f64 v[77:78], v[75:76], v[100:101]
	s_waitcnt vmcnt(0)
	v_mul_f64 v[92:93], v[81:82], v[98:99]
	v_fma_f64 v[32:33], v[16:17], v[71:72], v[32:33]
	v_mul_f64 v[71:72], v[73:74], v[100:101]
	v_add_f64 v[65:66], v[10:11], -v[18:19]
	v_lshrrev_b32_e32 v46, 9, v46
	v_mul_u32_u24_e32 v46, 0x37b, v46
	v_fma_f64 v[18:19], v[57:58], 2.0, -v[67:68]
	v_fma_f64 v[73:74], v[14:15], v[73:74], -v[77:78]
	v_fma_f64 v[77:78], v[12:13], v[83:84], v[92:93]
	v_add_f64 v[57:58], v[55:56], -v[32:33]
	v_fma_f64 v[32:33], v[16:17], v[69:70], -v[63:64]
	v_fma_f64 v[63:64], v[14:15], v[75:76], v[71:72]
	v_mul_f64 v[75:76], v[83:84], v[98:99]
	ds_read2_b64 v[69:72], v80 offset1:99
	v_fma_f64 v[16:17], v[10:11], 2.0, -v[65:66]
	v_sub_u32_e32 v46, v88, v46
	v_fma_f64 v[20:21], v[20:21], 2.0, -v[59:60]
	v_fma_f64 v[10:11], v[55:56], 2.0, -v[57:58]
	v_add_f64 v[55:56], v[8:9], -v[32:33]
	s_waitcnt lgkmcnt(0)
	v_add_f64 v[14:15], v[71:72], -v[63:64]
	v_fma_f64 v[32:33], v[12:13], v[81:82], -v[75:76]
	v_mad_u64_u32 v[63:64], s[4:5], s2, v46, 0
	v_add_f64 v[12:13], v[6:7], -v[73:74]
	v_add_f64 v[75:76], v[69:70], -v[77:78]
	v_fma_f64 v[8:9], v[8:9], 2.0, -v[55:56]
	v_fma_f64 v[79:80], v[71:72], 2.0, -v[14:15]
	v_add_f64 v[73:74], v[4:5], -v[32:33]
	v_mov_b32_e32 v32, v64
	v_mad_u64_u32 v[32:33], s[4:5], s3, v46, v[32:33]
	v_fma_f64 v[77:78], v[6:7], 2.0, -v[12:13]
	v_fma_f64 v[6:7], v[69:70], 2.0, -v[75:76]
	v_mov_b32_e32 v64, v32
	v_lshlrev_b64 v[32:33], 4, v[85:86]
	v_mov_b32_e32 v69, s11
	v_add_co_u32_e32 v70, vcc, s10, v32
	v_addc_co_u32_e32 v69, vcc, v69, v33, vcc
	v_lshlrev_b64 v[32:33], 4, v[90:91]
	v_add_u32_e32 v71, 0x63, v88
	v_add_co_u32_e32 v72, vcc, v70, v32
	v_addc_co_u32_e32 v81, vcc, v69, v33, vcc
	v_add_u32_e32 v69, 0x37b, v46
	v_lshlrev_b64 v[32:33], 4, v[63:64]
	v_mad_u64_u32 v[63:64], s[4:5], s2, v69, 0
	v_mul_hi_u32 v82, v71, s0
	v_fma_f64 v[4:5], v[4:5], 2.0, -v[73:74]
	v_mov_b32_e32 v46, v64
	v_mad_u64_u32 v[69:70], s[4:5], s3, v69, v[46:47]
	v_lshrrev_b32_e32 v46, 9, v82
	v_mul_u32_u24_e32 v64, 0x37b, v46
	v_sub_u32_e32 v64, v71, v64
	v_mad_u32_u24 v46, v46, s1, v64
	v_mad_u64_u32 v[70:71], s[4:5], s2, v46, 0
	v_add_co_u32_e32 v32, vcc, v72, v32
	v_addc_co_u32_e32 v33, vcc, v81, v33, vcc
	global_store_dwordx4 v[32:33], v[4:7], off
	v_mov_b32_e32 v64, v69
	v_mov_b32_e32 v6, v71
	v_mad_u64_u32 v[6:7], s[4:5], s3, v46, v[6:7]
	v_add_u32_e32 v32, 0x37b, v46
	v_add_u32_e32 v46, 0xc6, v88
	v_lshlrev_b64 v[4:5], 4, v[63:64]
	v_mov_b32_e32 v71, v6
	v_mad_u64_u32 v[6:7], s[4:5], s2, v32, 0
	v_mul_hi_u32 v63, v46, s0
	v_add_co_u32_e32 v4, vcc, v72, v4
	v_mad_u64_u32 v[32:33], s[4:5], s3, v32, v[7:8]
	v_lshrrev_b32_e32 v7, 9, v63
	v_mul_u32_u24_e32 v33, 0x37b, v7
	v_sub_u32_e32 v33, v46, v33
	v_addc_co_u32_e32 v5, vcc, v81, v5, vcc
	v_mad_u32_u24 v33, v7, s1, v33
	global_store_dwordx4 v[4:5], v[73:76], off
	v_lshlrev_b64 v[4:5], 4, v[70:71]
	v_mad_u64_u32 v[63:64], s[4:5], s2, v33, 0
	v_add_co_u32_e32 v4, vcc, v72, v4
	v_addc_co_u32_e32 v5, vcc, v81, v5, vcc
	v_mov_b32_e32 v7, v32
	global_store_dwordx4 v[4:5], v[77:80], off
	v_lshlrev_b64 v[4:5], 4, v[6:7]
	v_mov_b32_e32 v6, v64
	v_mad_u64_u32 v[6:7], s[4:5], s3, v33, v[6:7]
	v_add_co_u32_e32 v4, vcc, v72, v4
	v_addc_co_u32_e32 v5, vcc, v81, v5, vcc
	global_store_dwordx4 v[4:5], v[12:15], off
	v_mov_b32_e32 v64, v6
	v_add_u32_e32 v12, 0x37b, v33
	v_add_u32_e32 v14, 0x129, v88
	v_mad_u64_u32 v[6:7], s[4:5], s2, v12, 0
	v_mul_hi_u32 v15, v14, s0
	v_lshlrev_b64 v[4:5], 4, v[63:64]
	v_mad_u64_u32 v[12:13], s[4:5], s3, v12, v[7:8]
	v_lshrrev_b32_e32 v7, 9, v15
	v_mul_u32_u24_e32 v13, 0x37b, v7
	v_sub_u32_e32 v13, v14, v13
	v_mad_u32_u24 v15, v7, s1, v13
	v_mad_u64_u32 v[13:14], s[4:5], s2, v15, 0
	v_add_co_u32_e32 v4, vcc, v72, v4
	v_addc_co_u32_e32 v5, vcc, v81, v5, vcc
	v_mov_b32_e32 v7, v12
	global_store_dwordx4 v[4:5], v[8:11], off
	v_lshlrev_b64 v[4:5], 4, v[6:7]
	v_mov_b32_e32 v6, v14
	v_mad_u64_u32 v[6:7], s[4:5], s3, v15, v[6:7]
	v_add_u32_e32 v8, 0x37b, v15
	v_add_u32_e32 v9, 0x18c, v88
	v_mov_b32_e32 v14, v6
	v_mad_u64_u32 v[6:7], s[4:5], s2, v8, 0
	v_mul_hi_u32 v10, v9, s0
	v_add_co_u32_e32 v4, vcc, v72, v4
	v_mad_u64_u32 v[7:8], s[4:5], s3, v8, v[7:8]
	v_lshrrev_b32_e32 v8, 9, v10
	v_mul_u32_u24_e32 v10, 0x37b, v8
	v_sub_u32_e32 v9, v9, v10
	v_addc_co_u32_e32 v5, vcc, v81, v5, vcc
	v_mad_u32_u24 v10, v8, s1, v9
	global_store_dwordx4 v[4:5], v[55:58], off
	v_lshlrev_b64 v[4:5], 4, v[13:14]
	v_mad_u64_u32 v[8:9], s[4:5], s2, v10, 0
	v_add_co_u32_e32 v4, vcc, v72, v4
	v_addc_co_u32_e32 v5, vcc, v81, v5, vcc
	global_store_dwordx4 v[4:5], v[16:19], off
	v_lshlrev_b64 v[4:5], 4, v[6:7]
	v_mov_b32_e32 v6, v9
	v_mad_u64_u32 v[6:7], s[4:5], s3, v10, v[6:7]
	v_add_co_u32_e32 v4, vcc, v72, v4
	v_addc_co_u32_e32 v5, vcc, v81, v5, vcc
	v_mov_b32_e32 v9, v6
	global_store_dwordx4 v[4:5], v[65:68], off
	v_lshlrev_b64 v[4:5], 4, v[8:9]
	v_add_u32_e32 v8, 0x37b, v10
	v_mad_u64_u32 v[6:7], s[4:5], s2, v8, 0
	v_add_u32_e32 v9, 0x1ef, v88
	v_mul_hi_u32 v10, v9, s0
	v_mad_u64_u32 v[7:8], s[4:5], s3, v8, v[7:8]
	v_add_co_u32_e32 v4, vcc, v72, v4
	v_lshrrev_b32_e32 v8, 9, v10
	v_mul_u32_u24_e32 v10, 0x37b, v8
	v_sub_u32_e32 v9, v9, v10
	v_mad_u32_u24 v10, v8, s1, v9
	v_mad_u64_u32 v[8:9], s[4:5], s2, v10, 0
	v_addc_co_u32_e32 v5, vcc, v81, v5, vcc
	global_store_dwordx4 v[4:5], v[20:23], off
	v_lshlrev_b64 v[4:5], 4, v[6:7]
	v_mov_b32_e32 v6, v9
	v_mad_u64_u32 v[6:7], s[4:5], s3, v10, v[6:7]
	v_add_co_u32_e32 v4, vcc, v72, v4
	v_addc_co_u32_e32 v5, vcc, v81, v5, vcc
	v_mov_b32_e32 v9, v6
	global_store_dwordx4 v[4:5], v[59:62], off
	v_lshlrev_b64 v[4:5], 4, v[8:9]
	v_add_u32_e32 v8, 0x37b, v10
	v_mad_u64_u32 v[6:7], s[4:5], s2, v8, 0
	v_add_u32_e32 v9, 0x252, v88
	v_mul_hi_u32 v10, v9, s0
	v_mad_u64_u32 v[7:8], s[4:5], s3, v8, v[7:8]
	v_add_co_u32_e32 v4, vcc, v72, v4
	v_lshrrev_b32_e32 v8, 9, v10
	v_mul_u32_u24_e32 v10, 0x37b, v8
	v_sub_u32_e32 v9, v9, v10
	v_mad_u32_u24 v10, v8, s1, v9
	v_mad_u64_u32 v[8:9], s[4:5], s2, v10, 0
	;; [unrolled: 21-line block ×3, first 2 shown]
	v_addc_co_u32_e32 v5, vcc, v81, v5, vcc
	global_store_dwordx4 v[4:5], v[42:45], off
	v_lshlrev_b64 v[4:5], 4, v[6:7]
	v_mov_b32_e32 v6, v9
	v_mad_u64_u32 v[6:7], s[4:5], s3, v10, v[6:7]
	v_add_co_u32_e32 v4, vcc, v72, v4
	v_addc_co_u32_e32 v5, vcc, v81, v5, vcc
	v_mov_b32_e32 v9, v6
	global_store_dwordx4 v[4:5], v[51:54], off
	v_lshlrev_b64 v[4:5], 4, v[8:9]
	v_add_u32_e32 v8, 0x37b, v10
	v_mad_u64_u32 v[6:7], s[4:5], s2, v8, 0
	v_add_co_u32_e32 v4, vcc, v72, v4
	v_mad_u64_u32 v[7:8], s[4:5], s3, v8, v[7:8]
	v_add_u32_e32 v8, 0x318, v88
	v_mul_hi_u32 v9, v8, s0
	v_addc_co_u32_e32 v5, vcc, v81, v5, vcc
	global_store_dwordx4 v[4:5], v[28:31], off
	v_lshlrev_b64 v[4:5], 4, v[6:7]
	v_lshrrev_b32_e32 v6, 9, v9
	v_mul_u32_u24_e32 v7, 0x37b, v6
	v_sub_u32_e32 v7, v8, v7
	v_mad_u32_u24 v9, v6, s1, v7
	v_mad_u64_u32 v[6:7], s[0:1], s2, v9, 0
	v_add_u32_e32 v10, 0x37b, v9
	v_add_co_u32_e32 v4, vcc, v72, v4
	v_mad_u64_u32 v[7:8], s[0:1], s3, v9, v[7:8]
	v_mad_u64_u32 v[8:9], s[0:1], s2, v10, 0
	v_addc_co_u32_e32 v5, vcc, v81, v5, vcc
	global_store_dwordx4 v[4:5], v[34:37], off
	v_lshlrev_b64 v[4:5], 4, v[6:7]
	v_mov_b32_e32 v6, v9
	v_mad_u64_u32 v[6:7], s[0:1], s3, v10, v[6:7]
	v_add_co_u32_e32 v4, vcc, v72, v4
	v_addc_co_u32_e32 v5, vcc, v81, v5, vcc
	v_mov_b32_e32 v9, v6
	global_store_dwordx4 v[4:5], v[47:50], off
	v_lshlrev_b64 v[4:5], 4, v[8:9]
	v_add_co_u32_e32 v4, vcc, v72, v4
	v_addc_co_u32_e32 v5, vcc, v81, v5, vcc
	global_store_dwordx4 v[4:5], v[0:3], off
.LBB0_21:
	s_endpgm
	.section	.rodata,"a",@progbits
	.p2align	6, 0x0
	.amdhsa_kernel fft_rtc_fwd_len1782_factors_11_3_3_3_3_2_wgs_99_tpt_99_halfLds_dp_op_CI_CI_sbrr_dirReg
		.amdhsa_group_segment_fixed_size 0
		.amdhsa_private_segment_fixed_size 0
		.amdhsa_kernarg_size 104
		.amdhsa_user_sgpr_count 6
		.amdhsa_user_sgpr_private_segment_buffer 1
		.amdhsa_user_sgpr_dispatch_ptr 0
		.amdhsa_user_sgpr_queue_ptr 0
		.amdhsa_user_sgpr_kernarg_segment_ptr 1
		.amdhsa_user_sgpr_dispatch_id 0
		.amdhsa_user_sgpr_flat_scratch_init 0
		.amdhsa_user_sgpr_private_segment_size 0
		.amdhsa_uses_dynamic_stack 0
		.amdhsa_system_sgpr_private_segment_wavefront_offset 0
		.amdhsa_system_sgpr_workgroup_id_x 1
		.amdhsa_system_sgpr_workgroup_id_y 0
		.amdhsa_system_sgpr_workgroup_id_z 0
		.amdhsa_system_sgpr_workgroup_info 0
		.amdhsa_system_vgpr_workitem_id 0
		.amdhsa_next_free_vgpr 170
		.amdhsa_next_free_sgpr 42
		.amdhsa_reserve_vcc 1
		.amdhsa_reserve_flat_scratch 0
		.amdhsa_float_round_mode_32 0
		.amdhsa_float_round_mode_16_64 0
		.amdhsa_float_denorm_mode_32 3
		.amdhsa_float_denorm_mode_16_64 3
		.amdhsa_dx10_clamp 1
		.amdhsa_ieee_mode 1
		.amdhsa_fp16_overflow 0
		.amdhsa_exception_fp_ieee_invalid_op 0
		.amdhsa_exception_fp_denorm_src 0
		.amdhsa_exception_fp_ieee_div_zero 0
		.amdhsa_exception_fp_ieee_overflow 0
		.amdhsa_exception_fp_ieee_underflow 0
		.amdhsa_exception_fp_ieee_inexact 0
		.amdhsa_exception_int_div_zero 0
	.end_amdhsa_kernel
	.text
.Lfunc_end0:
	.size	fft_rtc_fwd_len1782_factors_11_3_3_3_3_2_wgs_99_tpt_99_halfLds_dp_op_CI_CI_sbrr_dirReg, .Lfunc_end0-fft_rtc_fwd_len1782_factors_11_3_3_3_3_2_wgs_99_tpt_99_halfLds_dp_op_CI_CI_sbrr_dirReg
                                        ; -- End function
	.section	.AMDGPU.csdata,"",@progbits
; Kernel info:
; codeLenInByte = 17668
; NumSgprs: 46
; NumVgprs: 170
; ScratchSize: 0
; MemoryBound: 1
; FloatMode: 240
; IeeeMode: 1
; LDSByteSize: 0 bytes/workgroup (compile time only)
; SGPRBlocks: 5
; VGPRBlocks: 42
; NumSGPRsForWavesPerEU: 46
; NumVGPRsForWavesPerEU: 170
; Occupancy: 1
; WaveLimiterHint : 1
; COMPUTE_PGM_RSRC2:SCRATCH_EN: 0
; COMPUTE_PGM_RSRC2:USER_SGPR: 6
; COMPUTE_PGM_RSRC2:TRAP_HANDLER: 0
; COMPUTE_PGM_RSRC2:TGID_X_EN: 1
; COMPUTE_PGM_RSRC2:TGID_Y_EN: 0
; COMPUTE_PGM_RSRC2:TGID_Z_EN: 0
; COMPUTE_PGM_RSRC2:TIDIG_COMP_CNT: 0
	.type	__hip_cuid_cc62c18422a3cf95,@object ; @__hip_cuid_cc62c18422a3cf95
	.section	.bss,"aw",@nobits
	.globl	__hip_cuid_cc62c18422a3cf95
__hip_cuid_cc62c18422a3cf95:
	.byte	0                               ; 0x0
	.size	__hip_cuid_cc62c18422a3cf95, 1

	.ident	"AMD clang version 19.0.0git (https://github.com/RadeonOpenCompute/llvm-project roc-6.4.0 25133 c7fe45cf4b819c5991fe208aaa96edf142730f1d)"
	.section	".note.GNU-stack","",@progbits
	.addrsig
	.addrsig_sym __hip_cuid_cc62c18422a3cf95
	.amdgpu_metadata
---
amdhsa.kernels:
  - .args:
      - .actual_access:  read_only
        .address_space:  global
        .offset:         0
        .size:           8
        .value_kind:     global_buffer
      - .offset:         8
        .size:           8
        .value_kind:     by_value
      - .actual_access:  read_only
        .address_space:  global
        .offset:         16
        .size:           8
        .value_kind:     global_buffer
      - .actual_access:  read_only
        .address_space:  global
        .offset:         24
        .size:           8
        .value_kind:     global_buffer
      - .actual_access:  read_only
        .address_space:  global
        .offset:         32
        .size:           8
        .value_kind:     global_buffer
      - .offset:         40
        .size:           8
        .value_kind:     by_value
      - .actual_access:  read_only
        .address_space:  global
        .offset:         48
        .size:           8
        .value_kind:     global_buffer
      - .actual_access:  read_only
        .address_space:  global
        .offset:         56
        .size:           8
        .value_kind:     global_buffer
      - .offset:         64
        .size:           4
        .value_kind:     by_value
      - .actual_access:  read_only
        .address_space:  global
        .offset:         72
        .size:           8
        .value_kind:     global_buffer
      - .actual_access:  read_only
        .address_space:  global
        .offset:         80
        .size:           8
        .value_kind:     global_buffer
      - .actual_access:  read_only
        .address_space:  global
        .offset:         88
        .size:           8
        .value_kind:     global_buffer
      - .actual_access:  write_only
        .address_space:  global
        .offset:         96
        .size:           8
        .value_kind:     global_buffer
    .group_segment_fixed_size: 0
    .kernarg_segment_align: 8
    .kernarg_segment_size: 104
    .language:       OpenCL C
    .language_version:
      - 2
      - 0
    .max_flat_workgroup_size: 99
    .name:           fft_rtc_fwd_len1782_factors_11_3_3_3_3_2_wgs_99_tpt_99_halfLds_dp_op_CI_CI_sbrr_dirReg
    .private_segment_fixed_size: 0
    .sgpr_count:     46
    .sgpr_spill_count: 0
    .symbol:         fft_rtc_fwd_len1782_factors_11_3_3_3_3_2_wgs_99_tpt_99_halfLds_dp_op_CI_CI_sbrr_dirReg.kd
    .uniform_work_group_size: 1
    .uses_dynamic_stack: false
    .vgpr_count:     170
    .vgpr_spill_count: 0
    .wavefront_size: 64
amdhsa.target:   amdgcn-amd-amdhsa--gfx906
amdhsa.version:
  - 1
  - 2
...

	.end_amdgpu_metadata
